;; amdgpu-corpus repo=ROCm/rocFFT kind=compiled arch=gfx1201 opt=O3
	.text
	.amdgcn_target "amdgcn-amd-amdhsa--gfx1201"
	.amdhsa_code_object_version 6
	.protected	bluestein_single_back_len1496_dim1_half_op_CI_CI ; -- Begin function bluestein_single_back_len1496_dim1_half_op_CI_CI
	.globl	bluestein_single_back_len1496_dim1_half_op_CI_CI
	.p2align	8
	.type	bluestein_single_back_len1496_dim1_half_op_CI_CI,@function
bluestein_single_back_len1496_dim1_half_op_CI_CI: ; @bluestein_single_back_len1496_dim1_half_op_CI_CI
; %bb.0:
	s_load_b128 s[4:7], s[0:1], 0x28
	v_mul_u32_u24_e32 v1, 0x15f, v0
	s_mov_b32 s2, exec_lo
	v_mov_b32_e32 v16, 0
	s_delay_alu instid0(VALU_DEP_2) | instskip(NEXT) | instid1(VALU_DEP_1)
	v_lshrrev_b32_e32 v1, 16, v1
	v_add_nc_u32_e32 v15, ttmp9, v1
	s_wait_kmcnt 0x0
	s_delay_alu instid0(VALU_DEP_1)
	v_cmpx_gt_u64_e64 s[4:5], v[15:16]
	s_cbranch_execz .LBB0_23
; %bb.1:
	v_mul_lo_u16 v1, 0xbb, v1
	s_clause 0x1
	s_load_b64 s[12:13], s[0:1], 0x0
	s_load_b64 s[14:15], s[0:1], 0x38
	s_delay_alu instid0(VALU_DEP_1) | instskip(NEXT) | instid1(VALU_DEP_1)
	v_sub_nc_u16 v0, v0, v1
	v_and_b32_e32 v38, 0xffff, v0
	v_cmp_gt_u16_e32 vcc_lo, 0x58, v0
	s_delay_alu instid0(VALU_DEP_2)
	v_lshlrev_b32_e32 v37, 2, v38
	v_or_b32_e32 v36, 0x580, v38
	s_and_saveexec_b32 s3, vcc_lo
	s_cbranch_execz .LBB0_3
; %bb.2:
	s_load_b64 s[4:5], s[0:1], 0x18
	v_add_nc_u32_e32 v41, 0xa00, v37
	v_add_nc_u32_e32 v43, 0x1000, v37
	;; [unrolled: 1-line block ×5, first 2 shown]
	s_wait_kmcnt 0x0
	s_load_b128 s[8:11], s[4:5], 0x0
	s_clause 0x7
	global_load_b32 v10, v37, s[12:13]
	global_load_b32 v11, v37, s[12:13] offset:352
	global_load_b32 v12, v37, s[12:13] offset:704
	;; [unrolled: 1-line block ×7, first 2 shown]
	s_wait_kmcnt 0x0
	v_mad_co_u64_u32 v[0:1], null, s10, v15, 0
	v_mad_co_u64_u32 v[2:3], null, s8, v38, 0
	;; [unrolled: 1-line block ×3, first 2 shown]
	s_mul_u64 s[4:5], s[8:9], 0x160
	s_delay_alu instid0(VALU_DEP_2) | instskip(NEXT) | instid1(VALU_DEP_2)
	v_mad_co_u64_u32 v[6:7], null, s11, v15, v[1:2]
	v_mad_co_u64_u32 v[7:8], null, s9, v38, v[3:4]
	s_delay_alu instid0(VALU_DEP_2) | instskip(SKIP_1) | instid1(VALU_DEP_3)
	v_mad_co_u64_u32 v[8:9], null, s9, v36, v[5:6]
	v_mov_b32_e32 v1, v6
	v_mov_b32_e32 v3, v7
	s_clause 0x7
	global_load_b32 v6, v37, s[12:13] offset:2816
	global_load_b32 v9, v37, s[12:13] offset:3168
	;; [unrolled: 1-line block ×8, first 2 shown]
	v_lshlrev_b64_e32 v[0:1], 2, v[0:1]
	v_mov_b32_e32 v5, v8
	v_lshlrev_b64_e32 v[2:3], 2, v[2:3]
	s_delay_alu instid0(VALU_DEP_3) | instskip(NEXT) | instid1(VALU_DEP_1)
	v_add_co_u32 v8, s2, s6, v0
	v_add_co_ci_u32_e64 v24, s2, s7, v1, s2
	s_delay_alu instid0(VALU_DEP_4) | instskip(NEXT) | instid1(VALU_DEP_3)
	v_lshlrev_b64_e32 v[0:1], 2, v[4:5]
	v_add_co_u32 v2, s2, v8, v2
	s_wait_alu 0xf1ff
	s_delay_alu instid0(VALU_DEP_3) | instskip(NEXT) | instid1(VALU_DEP_3)
	v_add_co_ci_u32_e64 v3, s2, v24, v3, s2
	v_add_co_u32 v0, s2, v8, v0
	s_wait_alu 0xf1ff
	v_add_co_ci_u32_e64 v1, s2, v24, v1, s2
	s_wait_alu 0xfffe
	v_add_co_u32 v4, s2, v2, s4
	s_wait_alu 0xf1ff
	v_add_co_ci_u32_e64 v5, s2, s5, v3, s2
	global_load_b32 v8, v[2:3], off
	global_load_b32 v24, v37, s[12:13] offset:5280
	s_clause 0x1
	global_load_b32 v25, v[0:1], off
	global_load_b32 v26, v[4:5], off
	v_add_co_u32 v0, s2, v4, s4
	s_wait_alu 0xf1ff
	v_add_co_ci_u32_e64 v1, s2, s5, v5, s2
	s_delay_alu instid0(VALU_DEP_2) | instskip(SKIP_1) | instid1(VALU_DEP_2)
	v_add_co_u32 v2, s2, v0, s4
	s_wait_alu 0xf1ff
	v_add_co_ci_u32_e64 v3, s2, s5, v1, s2
	s_clause 0x1
	global_load_b32 v4, v[0:1], off
	global_load_b32 v5, v[2:3], off
	v_add_co_u32 v0, s2, v2, s4
	s_wait_alu 0xf1ff
	v_add_co_ci_u32_e64 v1, s2, s5, v3, s2
	s_delay_alu instid0(VALU_DEP_2) | instskip(SKIP_1) | instid1(VALU_DEP_2)
	v_add_co_u32 v2, s2, v0, s4
	s_wait_alu 0xf1ff
	v_add_co_ci_u32_e64 v3, s2, s5, v1, s2
	global_load_b32 v27, v[0:1], off
	v_add_co_u32 v0, s2, v2, s4
	s_wait_alu 0xf1ff
	v_add_co_ci_u32_e64 v1, s2, s5, v3, s2
	global_load_b32 v28, v[2:3], off
	global_load_b32 v29, v[0:1], off
	v_add_co_u32 v0, s2, v0, s4
	s_wait_alu 0xf1ff
	v_add_co_ci_u32_e64 v1, s2, s5, v1, s2
	s_delay_alu instid0(VALU_DEP_2) | instskip(SKIP_1) | instid1(VALU_DEP_2)
	v_add_co_u32 v2, s2, v0, s4
	s_wait_alu 0xf1ff
	v_add_co_ci_u32_e64 v3, s2, s5, v1, s2
	global_load_b32 v30, v[0:1], off
	v_add_co_u32 v0, s2, v2, s4
	s_wait_alu 0xf1ff
	v_add_co_ci_u32_e64 v1, s2, s5, v3, s2
	;; [unrolled: 13-line block ×3, first 2 shown]
	global_load_b32 v34, v[2:3], off
	v_add_co_u32 v2, s2, v0, s4
	s_wait_alu 0xf1ff
	v_add_co_ci_u32_e64 v3, s2, s5, v1, s2
	global_load_b32 v35, v[0:1], off
	v_add_co_u32 v0, s2, v2, s4
	s_wait_alu 0xf1ff
	v_add_co_ci_u32_e64 v1, s2, s5, v3, s2
	;; [unrolled: 4-line block ×3, first 2 shown]
	global_load_b32 v0, v[0:1], off
	global_load_b32 v1, v[2:3], off
	v_add_nc_u32_e32 v2, 0x200, v37
	v_add_nc_u32_e32 v3, 0x400, v37
	s_wait_loadcnt 0x21
	v_lshrrev_b32_e32 v45, 16, v10
	s_wait_loadcnt 0x20
	v_lshrrev_b32_e32 v46, 16, v11
	;; [unrolled: 2-line block ×17, first 2 shown]
	v_mul_f16_e32 v62, v45, v8
	s_wait_loadcnt 0xf
	v_lshrrev_b32_e32 v64, 16, v25
	s_wait_loadcnt 0xe
	v_mul_f16_e32 v66, v46, v26
	v_mul_f16_e32 v65, v60, v25
	;; [unrolled: 1-line block ×3, first 2 shown]
	v_fma_f16 v61, v10, v61, -v62
	v_lshrrev_b32_e32 v62, 16, v26
	v_mul_f16_e32 v60, v60, v64
	v_fma_f16 v64, v7, v64, -v65
	v_fmac_f16_e32 v45, v10, v8
	v_lshrrev_b32_e32 v63, 16, v24
	v_mul_f16_e32 v8, v46, v62
	v_fma_f16 v10, v11, v62, -v66
	s_wait_loadcnt 0xd
	v_lshrrev_b32_e32 v46, 16, v4
	v_mul_f16_e32 v62, v47, v4
	v_fmac_f16_e32 v60, v7, v25
	v_fmac_f16_e32 v8, v11, v26
	s_wait_loadcnt 0xc
	v_lshrrev_b32_e32 v26, 16, v5
	v_mul_f16_e32 v11, v47, v46
	v_pack_b32_f16 v7, v45, v61
	v_fma_f16 v25, v12, v46, -v62
	v_mul_f16_e32 v45, v48, v5
	v_pack_b32_f16 v8, v8, v10
	v_fmac_f16_e32 v11, v12, v4
	v_mul_f16_e32 v4, v48, v26
	s_wait_loadcnt 0xb
	v_lshrrev_b32_e32 v12, 16, v27
	v_fma_f16 v10, v13, v26, -v45
	v_mul_f16_e32 v26, v49, v27
	ds_store_2addr_b32 v37, v7, v8 offset1:88
	v_pack_b32_f16 v7, v11, v25
	v_fmac_f16_e32 v4, v13, v5
	v_mul_f16_e32 v5, v49, v12
	s_wait_loadcnt 0xa
	v_lshrrev_b32_e32 v8, 16, v28
	v_mul_f16_e32 v11, v50, v28
	v_fma_f16 v12, v14, v12, -v26
	v_pack_b32_f16 v4, v4, v10
	v_fmac_f16_e32 v5, v14, v27
	v_mul_f16_e32 v10, v50, v8
	v_fma_f16 v8, v16, v8, -v11
	s_wait_loadcnt 0x9
	v_lshrrev_b32_e32 v11, 16, v29
	v_mul_f16_e32 v13, v51, v29
	ds_store_2addr_b32 v2, v7, v4 offset0:48 offset1:136
	v_pack_b32_f16 v2, v5, v12
	v_fmac_f16_e32 v10, v16, v28
	v_mul_f16_e32 v4, v51, v11
	s_wait_loadcnt 0x8
	v_lshrrev_b32_e32 v5, 16, v30
	v_mul_f16_e32 v7, v52, v30
	v_fma_f16 v11, v17, v11, -v13
	v_pack_b32_f16 v8, v10, v8
	v_fmac_f16_e32 v4, v17, v29
	v_mul_f16_e32 v10, v52, v5
	v_fma_f16 v5, v18, v5, -v7
	s_wait_loadcnt 0x7
	v_lshrrev_b32_e32 v7, 16, v31
	v_mul_f16_e32 v12, v53, v31
	ds_store_2addr_b32 v3, v2, v8 offset0:96 offset1:184
	v_pack_b32_f16 v2, v4, v11
	v_fmac_f16_e32 v10, v18, v30
	v_mul_f16_e32 v3, v53, v7
	s_wait_loadcnt 0x6
	v_lshrrev_b32_e32 v4, 16, v32
	v_fma_f16 v7, v6, v7, -v12
	v_mul_f16_e32 v8, v54, v32
	v_pack_b32_f16 v5, v10, v5
	v_fmac_f16_e32 v3, v6, v31
	v_mul_f16_e32 v6, v54, v4
	s_wait_loadcnt 0x5
	v_lshrrev_b32_e32 v10, 16, v33
	v_mul_f16_e32 v11, v55, v33
	v_fma_f16 v4, v9, v4, -v8
	v_pack_b32_f16 v3, v3, v7
	v_fmac_f16_e32 v6, v9, v32
	v_mul_f16_e32 v7, v55, v10
	v_fma_f16 v8, v19, v10, -v11
	s_wait_loadcnt 0x4
	v_lshrrev_b32_e32 v9, 16, v34
	v_mul_f16_e32 v10, v56, v34
	v_pack_b32_f16 v4, v6, v4
	v_fmac_f16_e32 v7, v19, v33
	s_wait_loadcnt 0x3
	v_lshrrev_b32_e32 v6, 16, v35
	v_mul_f16_e32 v11, v56, v9
	v_fma_f16 v9, v20, v9, -v10
	v_mul_f16_e32 v10, v57, v35
	s_wait_loadcnt 0x2
	v_lshrrev_b32_e32 v12, 16, v39
	v_pack_b32_f16 v7, v7, v8
	v_mul_f16_e32 v8, v57, v6
	s_wait_loadcnt 0x1
	v_lshrrev_b32_e32 v13, 16, v0
	v_fma_f16 v6, v21, v6, -v10
	v_mul_f16_e32 v10, v58, v39
	s_wait_loadcnt 0x0
	v_lshrrev_b32_e32 v16, 16, v1
	v_mul_f16_e32 v14, v58, v12
	v_mul_f16_e32 v17, v59, v13
	;; [unrolled: 1-line block ×3, first 2 shown]
	v_fma_f16 v10, v22, v12, -v10
	v_mul_f16_e32 v12, v59, v0
	v_mul_f16_e32 v19, v63, v16
	v_fmac_f16_e32 v11, v20, v34
	v_fmac_f16_e32 v8, v21, v35
	v_fmac_f16_e32 v14, v22, v39
	v_fma_f16 v12, v23, v13, -v12
	v_fmac_f16_e32 v17, v23, v0
	v_fma_f16 v0, v24, v16, -v18
	v_fmac_f16_e32 v19, v24, v1
	v_pack_b32_f16 v1, v11, v9
	v_pack_b32_f16 v6, v8, v6
	;; [unrolled: 1-line block ×6, first 2 shown]
	ds_store_2addr_b32 v40, v2, v5 offset0:16 offset1:104
	ds_store_2addr_b32 v41, v3, v4 offset0:64 offset1:152
	;; [unrolled: 1-line block ×5, first 2 shown]
	ds_store_b32 v37, v46 offset:5632
.LBB0_3:
	s_or_b32 exec_lo, exec_lo, s3
	s_load_b64 s[2:3], s[0:1], 0x20
	v_mov_b32_e32 v0, 0
	global_wb scope:SCOPE_SE
	s_wait_dscnt 0x0
	s_wait_kmcnt 0x0
	s_barrier_signal -1
	s_barrier_wait -1
	global_inv scope:SCOPE_SE
                                        ; implicit-def: $vgpr9
                                        ; implicit-def: $vgpr6
                                        ; implicit-def: $vgpr13
                                        ; implicit-def: $vgpr4
                                        ; implicit-def: $vgpr11
                                        ; implicit-def: $vgpr2
                                        ; implicit-def: $vgpr23
                                        ; implicit-def: $vgpr14
	s_and_saveexec_b32 s4, vcc_lo
	s_cbranch_execz .LBB0_5
; %bb.4:
	v_add_nc_u32_e32 v2, 0x200, v37
	v_add_nc_u32_e32 v3, 0x400, v37
	;; [unrolled: 1-line block ×3, first 2 shown]
	ds_load_2addr_b32 v[0:1], v37 offset1:88
	v_add_nc_u32_e32 v5, 0x1000, v37
	ds_load_2addr_b32 v[22:23], v2 offset0:48 offset1:136
	ds_load_2addr_b32 v[10:11], v3 offset0:96 offset1:184
	v_add_nc_u32_e32 v2, 0xa00, v37
	v_add_nc_u32_e32 v3, 0xc00, v37
	v_add_nc_u32_e32 v14, 0x1200, v37
	ds_load_2addr_b32 v[12:13], v4 offset0:16 offset1:104
	ds_load_2addr_b32 v[8:9], v2 offset0:64 offset1:152
	;; [unrolled: 1-line block ×5, first 2 shown]
	ds_load_b32 v14, v37 offset:5632
.LBB0_5:
	s_wait_alu 0xfffe
	s_or_b32 exec_lo, exec_lo, s4
	s_wait_dscnt 0x0
	v_pk_add_f16 v40, v1, v14 neg_lo:[0,1] neg_hi:[0,1]
	v_pk_add_f16 v67, v22, v3 neg_lo:[0,1] neg_hi:[0,1]
	v_pk_add_f16 v69, v14, v1
	v_pk_add_f16 v46, v23, v2 neg_lo:[0,1] neg_hi:[0,1]
	v_pk_add_f16 v73, v3, v22
	v_lshrrev_b32_e32 v45, 16, v40
	v_lshrrev_b32_e32 v87, 16, v67
	v_pk_add_f16 v43, v10, v5 neg_lo:[0,1] neg_hi:[0,1]
	v_lshrrev_b32_e32 v68, 16, v46
	v_pk_add_f16 v70, v2, v23
	v_mul_f16_e32 v28, 0xb964, v45
	v_mul_f16_e32 v31, 0xbb29, v45
	;; [unrolled: 1-line block ×5, first 2 shown]
	v_fmamk_f16 v16, v69, 0x39e9, v28
	v_fmamk_f16 v17, v69, 0x3722, v31
	v_mul_f16_e32 v34, 0xba62, v87
	v_fmamk_f16 v19, v69, 0x2de8, v35
	v_fmamk_f16 v21, v69, 0xb461, v52
	;; [unrolled: 1-line block ×3, first 2 shown]
	v_mul_f16_e32 v50, 0xb1e1, v87
	v_mul_f16_e32 v56, 0x3836, v87
	;; [unrolled: 1-line block ×3, first 2 shown]
	v_fmamk_f16 v60, v73, 0xb8d2, v34
	v_lshrrev_b32_e32 v66, 16, v43
	v_mul_f16_e32 v48, 0x31e1, v68
	v_pk_add_f16 v41, v11, v4 neg_lo:[0,1] neg_hi:[0,1]
	v_add_f16_e32 v16, v16, v0
	v_add_f16_e32 v17, v17, v0
	v_fmamk_f16 v63, v73, 0xbbdd, v50
	v_fmamk_f16 v64, v73, 0xbacd, v56
	;; [unrolled: 1-line block ×3, first 2 shown]
	v_mul_f16_e32 v54, 0x3bb2, v68
	v_mul_f16_e32 v59, 0x3964, v68
	v_pk_add_f16 v72, v5, v10
	v_mul_f16_e32 v33, 0xb1e1, v66
	v_fmamk_f16 v76, v70, 0xbbdd, v48
	v_lshrrev_b32_e32 v44, 16, v41
	v_mul_f16_e32 v49, 0x3bb2, v66
	v_pk_add_f16 v39, v12, v7 neg_lo:[0,1] neg_hi:[0,1]
	v_add_f16_e32 v19, v19, v0
	v_add_f16_e32 v16, v57, v16
	;; [unrolled: 1-line block ×4, first 2 shown]
	v_fmamk_f16 v79, v70, 0xb461, v54
	v_fmamk_f16 v82, v70, 0x39e9, v59
	v_fmamk_f16 v85, v72, 0xbbdd, v33
	v_mul_f16_e32 v55, 0x35c8, v66
	v_mul_f16_e32 v61, 0xbb29, v66
	v_pk_add_f16 v75, v4, v11
	v_mul_f16_e32 v32, 0x3836, v44
	v_fmamk_f16 v86, v72, 0xb461, v49
	v_lshrrev_b32_e32 v42, 16, v39
	v_mul_f16_e32 v51, 0x3964, v44
	v_pk_add_f16 v106, v13, v6 neg_lo:[0,1] neg_hi:[0,1]
	v_add_f16_e32 v19, v63, v19
	v_add_f16_e32 v21, v64, v21
	;; [unrolled: 1-line block ×4, first 2 shown]
	v_fmamk_f16 v88, v72, 0x3b76, v55
	v_fmamk_f16 v89, v72, 0x3722, v61
	;; [unrolled: 1-line block ×3, first 2 shown]
	v_mul_f16_e32 v58, 0xbb29, v44
	v_mul_f16_e32 v62, 0xb1e1, v44
	v_pk_add_f16 v77, v7, v12
	v_mul_f16_e32 v47, 0x3bb2, v42
	v_mul_f16_e32 v53, 0xb5c8, v42
	v_fmamk_f16 v91, v75, 0x39e9, v51
	v_lshrrev_b32_e32 v108, 16, v106
	v_add_f16_e32 v19, v79, v19
	v_add_f16_e32 v21, v82, v21
	;; [unrolled: 1-line block ×3, first 2 shown]
	v_pk_add_f16 v65, v8, v9 neg_lo:[0,1] neg_hi:[0,1]
	v_add_f16_e32 v17, v86, v17
	v_fmamk_f16 v92, v75, 0x3722, v58
	v_fmamk_f16 v93, v75, 0xbbdd, v62
	v_fmamk_f16 v94, v77, 0xb461, v47
	v_fmamk_f16 v95, v77, 0x3b76, v53
	v_mul_f16_e32 v74, 0xb836, v42
	v_mul_f16_e32 v80, 0x3bf7, v42
	v_pk_add_f16 v84, v6, v13
	v_mul_f16_e32 v57, 0x3b29, v108
	v_mul_f16_e32 v63, 0xbbf7, v108
	v_add_f16_e32 v19, v88, v19
	v_add_f16_e32 v64, v89, v21
	v_lshrrev_b32_e32 v21, 16, v65
	v_add_f16_e32 v16, v90, v16
	v_add_f16_e32 v17, v91, v17
	v_mul_f16_e32 v24, 0xb5c8, v45
	v_fmamk_f16 v96, v77, 0xbacd, v74
	v_fmamk_f16 v76, v77, 0x2de8, v80
	;; [unrolled: 1-line block ×4, first 2 shown]
	v_mul_f16_e32 v79, 0x3a62, v108
	v_mul_f16_e32 v85, 0xb5c8, v108
	v_pk_add_f16 v89, v9, v8
	v_add_f16_e32 v19, v92, v19
	v_mul_f16_e32 v60, 0x35c8, v21
	v_add_f16_e32 v82, v93, v64
	v_add_f16_e32 v16, v94, v16
	v_add_f16_e32 v17, v95, v17
	v_mul_f16_e32 v64, 0xb836, v21
	v_lshrrev_b32_e32 v71, 16, v69
	v_mul_f16_e32 v20, 0xb5c8, v40
	v_mul_f16_e32 v27, 0xb964, v40
	v_fmamk_f16 v18, v69, 0x3b76, v24
	v_mul_f16_e32 v25, 0xb964, v87
	v_fmamk_f16 v88, v84, 0xb8d2, v79
	v_fmamk_f16 v91, v84, 0x3b76, v85
	;; [unrolled: 1-line block ×3, first 2 shown]
	v_add_f16_e32 v19, v96, v19
	v_add_f16_e32 v76, v76, v82
	v_mul_f16_e32 v82, 0x3964, v21
	v_add_f16_e32 v16, v97, v16
	v_mul_f16_e32 v90, 0xba62, v21
	v_add_f16_e32 v86, v86, v17
	v_fmamk_f16 v93, v89, 0xbacd, v64
	v_fma_f16 v81, v71, 0x3b76, -v20
	v_fma_f16 v83, v71, 0x39e9, -v27
	v_lshrrev_b32_e32 v78, 16, v73
	v_mul_f16_e32 v26, 0xb964, v67
	v_add_f16_e32 v19, v88, v19
	v_fmamk_f16 v88, v89, 0x39e9, v82
	v_add_f16_e32 v94, v91, v76
	v_fmamk_f16 v95, v89, 0xb8d2, v90
	v_add_f16_e32 v17, v92, v16
	v_add_f16_e32 v16, v93, v86
	v_fmamk_f16 v92, v73, 0x39e9, v25
	v_add_f16_e32 v93, v18, v0
	v_lshrrev_b32_e32 v76, 16, v0
	v_mul_f16_e32 v91, 0xbb29, v40
	v_mul_f16_e32 v86, 0xbbf7, v67
	v_add_f16_e32 v19, v88, v19
	v_add_f16_e32 v18, v95, v94
	v_fma_f16 v88, v78, 0x39e9, -v26
	v_add_f16_e32 v81, v81, v76
	v_fma_f16 v94, v71, 0x3722, -v91
	v_add_f16_e32 v92, v92, v93
	v_mul_f16_e32 v93, 0xba62, v67
	v_fma_f16 v95, v78, 0x2de8, -v86
	v_add_f16_e32 v83, v83, v76
	v_mul_f16_e32 v99, 0xbbf7, v40
	v_mul_f16_e32 v109, 0xbbb2, v40
	v_add_f16_e32 v94, v94, v76
	v_fma_f16 v96, v78, 0xb8d2, -v93
	v_add_f16_e32 v88, v88, v81
	v_add_f16_e32 v97, v95, v83
	v_fma_f16 v81, v71, 0x2de8, -v99
	v_mul_f16_e32 v100, 0xb1e1, v67
	v_fma_f16 v83, v71, 0xb461, -v109
	v_mul_f16_e32 v116, 0xba62, v45
	v_mul_f16_e32 v110, 0x3836, v67
	v_add_f16_e32 v94, v96, v94
	v_add_f16_e32 v81, v81, v76
	v_fma_f16 v95, v78, 0xbbdd, -v100
	v_add_f16_e32 v83, v83, v76
	v_fmamk_f16 v96, v69, 0xb8d2, v116
	v_mul_f16_e32 v117, 0x3bb2, v87
	v_fma_f16 v98, v78, 0xbacd, -v110
	v_mul_f16_e32 v126, 0xba62, v40
	v_pk_mul_f16 v141, 0xb1e1b836, v40
	v_add_f16_e32 v101, v95, v81
	v_add_f16_e32 v81, v96, v0
	v_fmamk_f16 v95, v73, 0xb461, v117
	v_add_f16_e32 v96, v98, v83
	v_fma_f16 v83, v71, 0xb8d2, -v126
	v_mul_f16_e32 v127, 0x3bb2, v67
	v_mul_f16_e64 v136, 0xb836, v45
	v_mul_f16_e64 v139, 0x3b29, v87
	v_pk_fma_f16 v87, 0xbacdbbdd, v69, v141 op_sel:[0,0,1] op_sel_hi:[1,1,0] neg_lo:[0,0,1] neg_hi:[0,0,1]
	v_pk_mul_f16 v138, 0x35c83b29, v67
	v_mul_f16_e32 v40, 0xb1e1, v40
	v_add_f16_e32 v45, v95, v81
	v_add_f16_e32 v81, v83, v76
	v_fma_f16 v83, v78, 0xb461, -v127
	v_fma_f16 v95, 0xbacd, v69, v136
	v_pk_add_f16 v87, v87, v0
	v_pk_fma_f16 v102, 0x37223b76, v73, v138 op_sel:[0,0,1] op_sel_hi:[1,1,0] neg_lo:[0,0,1] neg_hi:[0,0,1]
	v_fma_f16 v103, v71, 0xbbdd, -v40
	v_mul_f16_e32 v67, 0x35c8, v67
	v_add_f16_e32 v95, v95, v0
	v_fma_f16 v98, 0x3722, v73, v139
	v_add_f16_e32 v104, v83, v81
	v_pk_add_f16 v107, v102, v87
	v_add_f16_e32 v87, v103, v76
	v_fma_f16 v103, v78, 0x3b76, -v67
	v_mul_f16_e32 v81, 0xbb29, v68
	v_add_f16_e32 v98, v98, v95
	v_lshrrev_b32_e32 v129, 16, v70
	v_mul_f16_e32 v95, 0xba62, v46
	v_add_f16_e32 v103, v103, v87
	v_fmamk_f16 v87, v70, 0x3722, v81
	v_mul_f16_e32 v105, 0x3bb2, v46
	v_mul_f16_e32 v119, 0x3964, v46
	v_fma_f16 v112, v129, 0xb8d2, -v95
	v_mul_f16_e64 v133, 0xb5c8, v46
	v_add_f16_e32 v92, v87, v92
	v_fma_f16 v87, v129, 0xb461, -v105
	v_mul_f16_e64 v148, 0xbbf7, v68
	v_mul_f16_e32 v83, 0xbb29, v46
	v_mul_f16_e32 v102, 0x31e1, v46
	v_add_f16_e32 v97, v112, v97
	v_mul_f16_e64 v128, 0xb5c8, v68
	v_add_f16_e32 v68, v87, v101
	v_fma_f16 v87, v129, 0x39e9, -v119
	v_fma_f16 v101, v129, 0x3b76, -v133
	v_fma_f16 v112, 0x2de8, v70, v148
	v_pk_mul_f16 v150, 0xb836bbf7, v46
	v_fma_f16 v111, v129, 0x3722, -v83
	v_fma_f16 v113, v129, 0xbbdd, -v102
	v_add_f16_e32 v96, v87, v96
	v_add_f16_e32 v101, v101, v104
	;; [unrolled: 1-line block ×3, first 2 shown]
	v_pk_fma_f16 v112, 0x2de8bacd, v70, v150 op_sel:[0,0,1] op_sel_hi:[1,1,0] neg_lo:[0,0,1] neg_hi:[0,0,1]
	v_mul_f16_e32 v46, 0xb836, v46
	v_mul_f16_e32 v87, 0xbbf7, v66
	v_add_f16_e32 v111, v111, v88
	v_add_f16_e32 v94, v113, v94
	v_fma_f16 v88, 0x3b76, v70, v128
	v_lshrrev_b32_e32 v132, 16, v72
	v_mul_f16_e32 v98, 0xb1e1, v43
	v_pk_add_f16 v112, v112, v107
	v_fma_f16 v113, v129, 0xbacd, -v46
	v_fmamk_f16 v114, v72, 0x2de8, v87
	v_mul_f16_e32 v107, 0x3bb2, v43
	v_add_f16_e32 v45, v88, v45
	v_mul_f16_e32 v88, 0xbbf7, v43
	v_fma_f16 v118, v132, 0xbbdd, -v98
	v_add_f16_e32 v103, v113, v103
	v_add_f16_e32 v114, v114, v92
	v_fma_f16 v92, v132, 0xb461, -v107
	v_mul_f16_e32 v113, 0x35c8, v43
	v_mul_f16_e32 v124, 0xbb29, v43
	v_fma_f16 v115, v132, 0x2de8, -v88
	v_add_f16_e32 v97, v118, v97
	v_mul_f16_e64 v134, 0xb836, v66
	v_add_f16_e32 v118, v92, v94
	v_fma_f16 v92, v132, 0x3b76, -v113
	v_fma_f16 v94, v132, 0x3722, -v124
	v_mul_f16_e64 v155, 0x3a62, v66
	v_add_f16_e32 v111, v115, v111
	v_mul_f16_e64 v142, 0xb836, v43
	v_fma_f16 v115, 0xbacd, v72, v134
	v_add_f16_e32 v66, v92, v68
	v_add_f16_e32 v68, v94, v96
	v_fma_f16 v96, 0xb8d2, v72, v155
	v_pk_mul_f16 v156, 0x39643a62, v43
	v_mul_f16_e32 v121, 0x3964, v43
	v_fma_f16 v120, v132, 0xbacd, -v142
	v_add_f16_e32 v45, v115, v45
	v_mul_f16_e32 v92, 0xbbb2, v44
	v_lshrrev_b32_e32 v135, 16, v75
	v_add_f16_e32 v43, v96, v104
	v_pk_fma_f16 v96, 0xb8d239e9, v72, v156 op_sel:[0,0,1] op_sel_hi:[1,1,0] neg_lo:[0,0,1] neg_hi:[0,0,1]
	v_fma_f16 v115, v132, 0x39e9, -v121
	v_mul_f16_e32 v104, 0x3836, v41
	v_add_f16_e32 v101, v120, v101
	v_mul_f16_e32 v94, 0xbbb2, v41
	v_fmamk_f16 v120, v75, 0xb461, v92
	v_pk_add_f16 v112, v96, v112
	v_add_f16_e32 v103, v115, v103
	v_fma_f16 v96, v135, 0xbacd, -v104
	v_mul_f16_e32 v115, 0xbb29, v41
	v_fma_f16 v122, v135, 0xb461, -v94
	v_add_f16_e32 v120, v120, v114
	v_mul_f16_e32 v114, 0x3964, v41
	v_mul_f16_e64 v130, 0xb1e1, v41
	v_add_f16_e32 v123, v96, v97
	v_fma_f16 v97, v135, 0x3722, -v115
	v_mul_f16_e64 v151, 0x3bf7, v41
	v_add_f16_e32 v122, v122, v111
	v_mul_f16_e64 v146, 0x3bf7, v44
	v_fma_f16 v96, v135, 0x39e9, -v114
	v_fma_f16 v111, v135, 0xbbdd, -v130
	v_add_f16_e32 v66, v97, v66
	v_fma_f16 v97, v135, 0x2de8, -v151
	v_mul_f16_e64 v159, 0xb5c8, v44
	v_pk_mul_f16 v160, 0xba62b5c8, v41
	v_fma_f16 v125, 0x2de8, v75, v146
	v_add_f16_e64 v131, v96, v118
	v_add_f16_e32 v68, v111, v68
	v_mul_f16_e32 v44, 0xba62, v41
	v_mul_f16_e32 v96, 0xba62, v42
	v_add_f16_e32 v41, v97, v101
	v_fma_f16 v101, 0x3b76, v75, v159
	v_pk_fma_f16 v111, 0x3b76b8d2, v75, v160 op_sel:[0,0,1] op_sel_hi:[1,1,0] neg_lo:[0,0,1] neg_hi:[0,0,1]
	v_lshrrev_b32_e32 v144, 16, v77
	v_mul_f16_e32 v97, 0xba62, v39
	v_add_f16_e32 v45, v125, v45
	v_fma_f16 v118, v135, 0xb8d2, -v44
	v_fmamk_f16 v125, v77, 0xb8d2, v96
	v_add_f16_e32 v43, v101, v43
	v_pk_add_f16 v112, v111, v112
	v_fma_f16 v101, v144, 0xb8d2, -v97
	v_mul_f16_e32 v111, 0x3bb2, v39
	v_add_f16_e32 v103, v118, v103
	v_add_f16_e32 v120, v125, v120
	v_mul_f16_e32 v118, 0xb5c8, v39
	v_mul_f16_e32 v125, 0xb836, v39
	v_add_f16_e32 v122, v101, v122
	v_fma_f16 v101, v144, 0xb461, -v111
	v_mul_f16_e64 v153, 0xb964, v42
	v_mul_f16_e64 v140, 0x3bf7, v39
	v_fma_f16 v137, v144, 0x3b76, -v118
	v_fma_f16 v143, v144, 0xbacd, -v125
	v_add_f16_e64 v152, v101, v123
	v_fma_f16 v101, 0x39e9, v77, v153
	v_mul_f16_e64 v157, 0xb964, v39
	v_mul_f16_e64 v163, 0xb1e1, v42
	v_pk_mul_f16 v164, 0x3b29b1e1, v39
	v_mul_f16_e32 v39, 0x3b29, v39
	v_fma_f16 v145, v144, 0x2de8, -v140
	v_add_f16_e64 v137, v137, v131
	v_add_f16_e64 v66, v143, v66
	v_add_f16_e32 v42, v101, v45
	v_fma_f16 v45, v144, 0x39e9, -v157
	v_fma_f16 v123, 0xbbdd, v77, v163
	v_pk_fma_f16 v131, 0xbbdd3722, v77, v164 op_sel:[0,0,1] op_sel_hi:[1,1,0] neg_lo:[0,0,1] neg_hi:[0,0,1]
	v_fma_f16 v143, v144, 0x3722, -v39
	v_mul_f16_e32 v101, 0xb836, v108
	v_add_f16_e64 v68, v145, v68
	v_add_f16_e32 v41, v45, v41
	v_add_f16_e32 v43, v123, v43
	v_pk_add_f16 v45, v131, v112
	v_add_f16_e64 v143, v143, v103
	v_fma_f16 v145, 0xbacd, v84, v101
	v_lshrrev_b32_e32 v147, 16, v84
	v_mul_f16_e32 v103, 0xb836, v106
	v_mul_f16_e32 v112, 0x3b29, v106
	;; [unrolled: 1-line block ×3, first 2 shown]
	v_mul_f16_e64 v131, 0x3a62, v106
	v_add_f16_e64 v120, v145, v120
	v_fma_f16 v145, v147, 0xbacd, -v103
	v_fma_f16 v154, v147, 0x3722, -v112
	;; [unrolled: 1-line block ×4, first 2 shown]
	v_mul_f16_e64 v149, 0xb5c8, v106
	v_add_f16_e64 v122, v145, v122
	v_add_f16_e64 v145, v154, v152
	;; [unrolled: 1-line block ×4, first 2 shown]
	v_fma_f16 v137, v147, 0x3b76, -v149
	v_mul_f16_e64 v161, 0xb1e1, v106
	v_mul_f16_e64 v158, 0xb1e1, v108
	;; [unrolled: 1-line block ×4, first 2 shown]
	v_add_f16_e64 v68, v137, v68
	v_fma_f16 v137, v147, 0xbbdd, -v161
	v_pk_mul_f16 v166, 0xbbb23964, v106
	v_fma_f16 v108, 0xbbdd, v84, v158
	v_fma_f16 v154, 0x39e9, v84, v167
	v_mul_f16_e32 v106, 0xb1e1, v21
	v_add_f16_e64 v169, v137, v41
	v_fma_f16 v41, v147, 0xb461, -v165
	v_pk_fma_f16 v162, 0x39e9b461, v84, v166 op_sel:[0,0,1] op_sel_hi:[1,1,0] neg_lo:[0,0,1] neg_hi:[0,0,1]
	v_add_f16_e64 v176, v108, v42
	v_add_f16_e64 v177, v154, v43
	v_lshrrev_b32_e32 v154, 16, v89
	v_mul_f16_e32 v108, 0xb1e1, v65
	v_pk_fma_f16 v42, 0xbacdbbdd, v69, v141 op_sel:[0,0,1] op_sel_hi:[1,1,0]
	v_mul_f16_e32 v43, 0x3b76, v78
	v_add_f16_e64 v143, v41, v143
	v_fmamk_f16 v41, v89, 0xbbdd, v106
	v_pk_add_f16 v178, v162, v45
	v_fma_f16 v45, v154, 0xbbdd, -v108
	v_pack_b32_f16 v42, v67, v42
	v_perm_b32 v43, v0, v43, 0x5040100
	v_fmamk_f16 v67, v71, 0xbbdd, v40
	v_pk_mul_f16 v170, 0x37223b76, v73
	v_add_f16_e32 v40, v41, v120
	v_mul_f16_e32 v120, 0x35c8, v65
	v_add_f16_e32 v41, v45, v122
	v_pk_add_f16 v43, v42, v43
	v_pack_b32_f16 v42, v67, v170
	v_perm_b32 v45, v138, v0, 0x7060302
	v_fma_f16 v67, v154, 0x3b76, -v120
	v_pk_mul_f16 v172, 0x2de8bacd, v70
	v_mul_f16_e64 v122, 0xbacd, v129
	v_mul_f16_e64 v137, 0xb836, v65
	v_pk_add_f16 v45, v42, v45
	v_add_f16_e64 v42, v67, v145
	v_pack_b32_f16 v46, v46, v172
	v_bfi_b32 v67, 0xffff, v122, v150
	v_pk_mul_f16 v171, 0xb8d239e9, v72
	v_mul_f16_e64 v145, 0x39e9, v132
	v_fma_f16 v122, v154, 0xbacd, -v137
	v_pk_add_f16 v45, v45, v43
	v_pk_add_f16 v46, v46, v67
	v_pack_b32_f16 v67, v121, v171
	v_bfi_b32 v121, 0xffff, v145, v156
	v_add_f16_e64 v43, v122, v152
	v_pk_mul_f16 v173, 0x3b76b8d2, v75
	v_mul_f16_e64 v122, 0xb8d2, v135
	v_pk_add_f16 v45, v46, v45
	v_pk_add_f16 v46, v67, v121
	v_mul_f16_e64 v152, 0x3964, v65
	v_pack_b32_f16 v44, v44, v173
	v_bfi_b32 v67, 0xffff, v122, v160
	v_pk_mul_f16 v174, 0xbbdd3722, v77
	v_pk_add_f16 v45, v46, v45
	v_mul_f16_e64 v46, 0x3722, v144
	v_fma_f16 v121, v154, 0x39e9, -v152
	v_pk_add_f16 v67, v44, v67
	v_mul_f16_e64 v162, 0xba62, v65
	v_pack_b32_f16 v39, v39, v174
	v_mul_f16_e64 v168, 0x3b29, v65
	v_bfi_b32 v46, 0xffff, v46, v164
	v_add_f16_e32 v44, v121, v66
	v_fma_f16 v66, v154, 0xb8d2, -v162
	v_pk_add_f16 v67, v67, v45
	v_fma_f16 v121, v154, 0x3722, -v168
	v_pk_add_f16 v39, v39, v46
	v_pk_mul_f16 v175, 0x39e9b461, v84
	v_mul_f16_e64 v122, 0xb461, v147
	v_add_f16_e32 v45, v66, v68
	v_add_f16_e64 v46, v121, v169
	v_pk_add_f16 v39, v39, v67
	v_pack_b32_f16 v66, v165, v175
	v_bfi_b32 v67, 0xffff, v122, v166
	v_pk_mul_f16 v165, 0x3bf7bbb2, v65
	v_mul_f16_e32 v65, 0x3bf7, v65
	v_mul_f16_e64 v68, 0x2de8, v154
	v_pk_mul_f16 v121, 0xb4612de8, v89
	s_load_b64 s[8:9], s[0:1], 0x8
	v_mul_f16_e32 v122, 0xbbb2, v21
	v_pk_add_f16 v66, v66, v67
	v_bfi_b32 v67, 0xffff, v68, v165
	v_pack_b32_f16 v68, v65, v121
	v_mul_f16_e64 v169, 0x3b29, v21
	v_fma_f16 v145, 0xb461, v89, v122
	v_pk_add_f16 v21, v66, v39
	v_pk_fma_f16 v39, 0xb4612de8, v89, v165 op_sel:[0,0,1] op_sel_hi:[1,1,0] neg_lo:[0,0,1] neg_hi:[0,0,1]
	v_pk_add_f16 v66, v68, v67
	v_fma_f16 v179, v154, 0x2de8, -v65
	v_fma_f16 v180, 0x3722, v89, v169
	v_add_f16_e64 v65, v145, v177
	v_pk_add_f16 v68, v39, v178
	v_pk_add_f16 v67, v66, v21
	v_add_f16_e64 v66, v179, v143
	v_add_f16_e64 v21, v180, v176
	v_mul_lo_u16 v39, v38, 17
	global_wb scope:SCOPE_SE
	s_wait_kmcnt 0x0
	s_barrier_signal -1
	s_barrier_wait -1
	global_inv scope:SCOPE_SE
	s_and_saveexec_b32 s0, vcc_lo
	s_cbranch_execz .LBB0_7
; %bb.6:
	v_pk_mul_f16 v184, 0xbacdbbdd, v69
	v_mul_f16_e64 v143, 0x3b76, v69
	v_mul_f16_e64 v176, 0x39e9, v69
	;; [unrolled: 1-line block ×6, first 2 shown]
	v_mul_f16_e32 v69, 0xbacd, v69
	v_bfi_b32 v136, 0xffff, v136, v184
	v_alignbit_b32 v141, v141, v141, 16
	v_bfi_b32 v139, 0xffff, v139, v170
	v_alignbit_b32 v138, v138, v138, 16
	v_bfi_b32 v155, 0xffff, v155, v171
	v_pk_add_f16 v69, v69, v136 neg_lo:[0,1] neg_hi:[0,1]
	v_pk_add_f16 v136, v141, v184
	v_mul_f16_e64 v184, 0x3722, v73
	v_pk_add_f16 v138, v138, v170
	v_alignbit_b32 v156, v156, v156, 16
	v_alignbit_b32 v160, v160, v160, 16
	v_mul_f16_e64 v145, 0x3b76, v71
	v_pk_add_f16 v139, v184, v139 neg_lo:[0,1] neg_hi:[0,1]
	v_mul_f16_e64 v177, 0x39e9, v71
	v_pk_add_f16 v156, v156, v171
	v_mul_f16_e64 v179, 0x3722, v71
	v_mul_f16_e64 v181, 0x2de8, v71
	v_bfi_b32 v138, 0xffff, v139, v138
	v_mul_f16_e64 v139, 0xb8d2, v72
	v_mul_f16_e64 v183, 0xb461, v71
	v_mul_f16_e32 v71, 0xb8d2, v71
	v_bfi_b32 v69, 0xffff, v69, v136
	v_mul_f16_e64 v136, 0x2de8, v70
	v_pk_add_f16 v139, v139, v155 neg_lo:[0,1] neg_hi:[0,1]
	v_bfi_b32 v148, 0xffff, v148, v172
	v_alignbit_b32 v150, v150, v150, 16
	v_bfi_b32 v155, 0xffff, v159, v173
	v_pk_add_f16 v160, v160, v173
	v_mul_f16_e64 v173, 0xbbdd, v77
	v_bfi_b32 v139, 0xffff, v139, v156
	v_bfi_b32 v156, 0xffff, v163, v174
	v_mul_f16_e64 v187, 0x39e9, v78
	v_mul_f16_e64 v189, 0x2de8, v78
	;; [unrolled: 1-line block ×4, first 2 shown]
	v_pk_add_f16 v136, v136, v148 neg_lo:[0,1] neg_hi:[0,1]
	v_pk_add_f16 v150, v150, v172
	v_mul_f16_e64 v172, 0xbacd, v78
	v_mul_f16_e32 v78, 0xb461, v78
	v_pk_add_f16 v156, v173, v156 neg_lo:[0,1] neg_hi:[0,1]
	v_mul_f16_e64 v173, 0x39e9, v84
	v_bfi_b32 v167, 0xffff, v167, v175
	v_add_f16_e32 v71, v126, v71
	v_alignbit_b32 v166, v166, v166, 16
	v_bfi_b32 v136, 0xffff, v136, v150
	v_mul_f16_e64 v150, 0x3b76, v75
	v_pk_add_f16 v167, v173, v167 neg_lo:[0,1] neg_hi:[0,1]
	v_add_f16_e32 v78, v127, v78
	v_add_f16_e32 v71, v71, v76
	v_pk_add_f16 v166, v166, v175
	v_mul_f16_e64 v175, 0x3b76, v129
	v_mul_f16_e64 v186, 0x39e9, v73
	;; [unrolled: 1-line block ×6, first 2 shown]
	v_mul_f16_e32 v73, 0xb461, v73
	v_pk_add_f16 v150, v150, v155 neg_lo:[0,1] neg_hi:[0,1]
	v_alignbit_b32 v164, v164, v164, 16
	v_add_f16_e32 v71, v78, v71
	v_add_f16_e64 v133, v133, v175
	v_bfi_b32 v166, 0xffff, v167, v166
	v_mul_f16_e64 v167, 0xbacd, v132
	v_sub_f16_e64 v116, v185, v116
	v_mul_f16_e64 v159, 0x3722, v70
	v_mul_f16_e64 v155, 0xb8d2, v70
	v_bfi_b32 v150, 0xffff, v150, v160
	v_mul_f16_e64 v160, 0xbbdd, v70
	v_pk_add_f16 v164, v164, v174
	v_mul_f16_e32 v126, 0xb461, v70
	v_mul_f16_e32 v127, 0x39e9, v70
	;; [unrolled: 1-line block ×3, first 2 shown]
	v_add_f16_e64 v71, v133, v71
	v_add_f16_e64 v142, v142, v167
	v_mul_f16_e64 v167, 0x2de8, v135
	v_sub_f16_e32 v73, v73, v117
	v_add_f16_e32 v116, v116, v0
	v_pk_add_f16 v1, v1, v0
	v_sub_f16_e64 v28, v176, v28
	v_mul_f16_e32 v78, 0x2de8, v72
	v_bfi_b32 v156, 0xffff, v156, v164
	v_mul_f16_e64 v164, 0xbbdd, v72
	v_mul_f16_e64 v185, 0xb461, v72
	v_add_f16_e64 v71, v142, v71
	v_mul_f16_e64 v142, 0x3b76, v72
	v_add_f16_e64 v151, v151, v167
	v_add_f16_e32 v73, v73, v116
	v_mul_f16_e32 v116, 0x3722, v72
	v_sub_f16_e64 v70, v70, v128
	v_mul_f16_e64 v128, 0x39e9, v144
	v_mul_f16_e32 v72, 0xbacd, v72
	v_pk_add_f16 v1, v22, v1
	v_add_f16_e32 v28, v28, v0
	v_sub_f16_e64 v29, v188, v29
	v_add_f16_e64 v71, v151, v71
	v_add_f16_e64 v128, v157, v128
	v_add_f16_e32 v70, v70, v73
	v_mul_f16_e64 v73, 0xbbdd, v147
	v_sub_f16_e64 v72, v72, v134
	v_pk_add_f16 v1, v23, v1
	v_add_f16_e32 v28, v29, v28
	v_sub_f16_e64 v29, v155, v30
	v_add_f16_e64 v71, v128, v71
	v_add_f16_e64 v73, v161, v73
	v_add_f16_e32 v70, v72, v70
	v_mul_f16_e64 v72, 0x3722, v154
	v_sub_f16_e64 v52, v182, v52
	v_pk_add_f16 v1, v10, v1
	v_mul_f16_e64 v134, 0xbacd, v75
	v_add_f16_e32 v28, v29, v28
	v_sub_f16_e64 v29, v164, v33
	v_mul_f16_e64 v128, 0x2de8, v75
	v_add_f16_e32 v71, v73, v71
	v_add_f16_e64 v72, v168, v72
	v_add_f16_e64 v109, v109, v183
	v_sub_f16_e64 v56, v148, v56
	v_add_f16_e32 v52, v52, v0
	v_pk_add_f16 v1, v11, v1
	v_add_f16_e64 v110, v110, v172
	v_mul_f16_e64 v172, 0xb461, v77
	v_add_f16_e32 v28, v29, v28
	v_sub_f16_e64 v22, v134, v32
	v_sub_f16_e64 v35, v180, v35
	v_mul_f16_e64 v171, 0x3722, v129
	v_mul_f16_e64 v163, 0xb8d2, v129
	;; [unrolled: 1-line block ×5, first 2 shown]
	v_sub_f16_e64 v128, v128, v146
	v_mul_f16_e32 v73, 0x39e9, v77
	v_add_f16_e32 v71, v72, v71
	v_mul_f16_e32 v72, 0xbbdd, v84
	v_add_f16_e32 v109, v109, v76
	v_add_f16_e32 v52, v56, v52
	v_sub_f16_e32 v59, v127, v59
	v_pk_add_f16 v1, v12, v1
	v_mul_f16_e64 v175, 0x2de8, v132
	v_mul_f16_e64 v133, 0xbbdd, v132
	;; [unrolled: 1-line block ×5, first 2 shown]
	v_add_f16_e32 v22, v22, v28
	v_sub_f16_e64 v23, v172, v47
	v_add_f16_e32 v35, v35, v0
	v_sub_f16_e64 v50, v184, v50
	v_sub_f16_e64 v31, v178, v31
	v_mul_f16_e64 v151, 0xb461, v75
	v_mul_f16_e64 v146, 0x39e9, v75
	v_add_f16_e64 v70, v128, v70
	v_mul_f16_e64 v128, 0x3722, v75
	v_sub_f16_e64 v73, v73, v153
	v_mul_f16_e32 v75, 0xbbdd, v75
	v_sub_f16_e64 v72, v72, v158
	v_mul_f16_e64 v158, 0x3722, v89
	v_add_f16_e32 v109, v110, v109
	v_add_f16_e64 v119, v119, v129
	v_add_f16_e32 v52, v59, v52
	v_sub_f16_e32 v61, v116, v61
	v_pk_add_f16 v1, v13, v1
	v_add_f16_e64 v124, v124, v132
	v_mul_f16_e64 v132, 0x3722, v84
	v_add_f16_e64 v20, v20, v145
	v_add_f16_e32 v22, v23, v22
	v_sub_f16_e64 v23, v143, v24
	v_add_f16_e32 v35, v50, v35
	v_sub_f16_e32 v50, v126, v54
	v_add_f16_e64 v54, v91, v179
	v_add_f16_e32 v31, v31, v0
	v_sub_f16_e64 v34, v141, v34
	v_add_f16_e64 v27, v27, v177
	v_add_f16_e32 v70, v73, v70
	v_mul_f16_e32 v73, 0xb8d2, v77
	v_sub_f16_e64 v158, v158, v169
	v_mul_f16_e64 v169, 0x3b76, v77
	v_mul_f16_e64 v129, 0xbacd, v77
	v_mul_f16_e32 v77, 0x2de8, v77
	v_add_f16_e32 v109, v119, v109
	v_add_f16_e32 v52, v61, v52
	v_sub_f16_e32 v62, v75, v62
	v_add_f16_e64 v99, v99, v181
	v_pk_add_f16 v1, v8, v1
	v_add_f16_e32 v20, v20, v76
	v_add_f16_e64 v11, v26, v187
	v_sub_f16_e64 v24, v132, v57
	v_add_f16_e32 v23, v23, v0
	v_sub_f16_e64 v25, v186, v25
	v_add_f16_e32 v35, v50, v35
	;; [unrolled: 2-line block ×3, first 2 shown]
	v_add_f16_e64 v55, v93, v190
	v_add_f16_e32 v31, v34, v31
	v_sub_f16_e64 v34, v160, v48
	v_add_f16_e32 v27, v27, v76
	v_add_f16_e64 v48, v86, v189
	v_mul_f16_e32 v119, 0xbacd, v84
	v_add_f16_e32 v109, v124, v109
	v_mul_f16_e32 v124, 0x2de8, v84
	v_mul_f16_e32 v56, 0xb8d2, v84
	v_mul_f16_e32 v84, 0x3b76, v84
	v_add_f16_e32 v52, v62, v52
	v_sub_f16_e32 v62, v77, v80
	v_add_f16_e32 v77, v99, v76
	v_add_f16_e64 v80, v100, v170
	v_pk_add_f16 v1, v9, v1
	v_add_f16_e32 v11, v11, v20
	v_add_f16_e64 v12, v83, v171
	v_add_f16_e32 v20, v24, v22
	v_add_f16_e32 v22, v25, v23
	v_sub_f16_e64 v13, v159, v81
	v_add_f16_e32 v35, v50, v35
	v_sub_f16_e64 v50, v128, v58
	v_add_f16_e32 v54, v55, v54
	v_add_f16_e64 v55, v102, v174
	v_add_f16_e32 v31, v34, v31
	v_sub_f16_e64 v34, v185, v49
	v_add_f16_e32 v27, v48, v27
	v_add_f16_e64 v48, v95, v163
	v_mul_f16_e64 v181, 0xb8d2, v89
	v_add_f16_e32 v52, v62, v52
	v_sub_f16_e32 v62, v84, v85
	v_add_f16_e32 v77, v80, v77
	v_add_f16_e64 v80, v105, v173
	v_pk_add_f16 v1, v6, v1
	v_pk_add_f16 v0, v69, v0
	v_mul_f16_e64 v157, 0xb461, v135
	v_add_f16_e32 v11, v12, v11
	v_add_f16_e64 v12, v88, v175
	v_add_f16_e32 v8, v13, v22
	v_sub_f16_e32 v13, v78, v87
	v_mul_f16_e64 v161, 0xbacd, v135
	v_mul_f16_e64 v168, 0x39e9, v135
	;; [unrolled: 1-line block ×4, first 2 shown]
	v_add_f16_e32 v70, v72, v70
	v_add_f16_e32 v35, v50, v35
	v_sub_f16_e64 v50, v129, v74
	v_add_f16_e32 v54, v55, v54
	v_add_f16_e32 v55, v107, v117
	;; [unrolled: 1-line block ×3, first 2 shown]
	v_sub_f16_e64 v34, v146, v51
	v_add_f16_e32 v27, v48, v27
	v_add_f16_e64 v48, v98, v133
	v_add_f16_e32 v52, v62, v52
	v_sub_f16_e64 v62, v181, v90
	v_add_f16_e32 v77, v80, v77
	v_add_f16_e64 v80, v113, v167
	v_pk_add_f16 v1, v7, v1
	v_pk_add_f16 v0, v138, v0
	v_mul_f16_e64 v183, 0xb8d2, v144
	v_add_f16_e32 v11, v12, v11
	v_add_f16_e64 v12, v94, v157
	v_add_f16_e32 v8, v13, v8
	v_sub_f16_e64 v13, v151, v92
	v_mul_f16_e64 v72, 0xb461, v144
	v_mul_f16_e64 v110, 0x3b76, v144
	v_add_f16_e64 v70, v158, v70
	v_mul_f16_e64 v158, 0xbacd, v144
	v_mul_f16_e64 v144, 0x2de8, v144
	v_add_f16_e64 v130, v130, v135
	v_mul_f16_e32 v61, 0x39e9, v89
	v_add_f16_e32 v35, v50, v35
	v_sub_f16_e32 v50, v56, v79
	v_add_f16_e32 v54, v55, v54
	v_add_f16_e64 v55, v114, v168
	v_add_f16_e32 v31, v34, v31
	v_sub_f16_e64 v34, v169, v53
	v_add_f16_e32 v27, v48, v27
	v_add_f16_e64 v48, v104, v161
	v_add_f16_e32 v52, v62, v52
	v_add_f16_e32 v62, v80, v77
	v_add_f16_e64 v77, v115, v153
	v_pk_add_f16 v1, v4, v1
	v_pk_add_f16 v0, v136, v0
	v_mul_f16_e64 v182, 0xbacd, v147
	v_add_f16_e32 v11, v12, v11
	v_add_f16_e64 v6, v97, v183
	v_add_f16_e32 v8, v13, v8
	v_sub_f16_e32 v12, v73, v96
	v_mul_f16_e64 v148, 0x3722, v147
	v_mul_f16_e64 v135, 0x2de8, v147
	;; [unrolled: 1-line block ×4, first 2 shown]
	v_add_f16_e64 v109, v130, v109
	v_add_f16_e64 v140, v140, v144
	v_add_f16_e32 v35, v50, v35
	v_sub_f16_e32 v50, v61, v82
	v_add_f16_e32 v54, v55, v54
	v_add_f16_e32 v55, v118, v110
	;; [unrolled: 1-line block ×3, first 2 shown]
	v_sub_f16_e32 v31, v124, v63
	v_add_f16_e32 v27, v48, v27
	v_add_f16_e32 v34, v111, v72
	;; [unrolled: 1-line block ×3, first 2 shown]
	v_add_f16_e64 v77, v125, v158
	v_pk_add_f16 v1, v5, v1
	v_pk_add_f16 v0, v139, v0
	v_mul_f16_e64 v130, 0xbbdd, v89
	v_mul_f16_e64 v144, 0xbbdd, v154
	v_add_f16_e32 v6, v6, v11
	v_add_f16_e64 v7, v103, v182
	v_add_f16_e32 v8, v12, v8
	v_sub_f16_e32 v4, v119, v101
	v_mul_f16_e32 v59, 0x3b76, v89
	v_mul_f16_e64 v116, 0x3b76, v154
	v_add_f16_e64 v109, v140, v109
	v_mul_f16_e64 v140, 0xbacd, v89
	v_add_f16_e64 v147, v149, v147
	v_mul_f16_e64 v149, 0xbacd, v154
	v_add_f16_e32 v35, v50, v35
	v_add_f16_e32 v50, v55, v54
	v_add_f16_e64 v54, v123, v135
	v_add_f16_e32 v30, v31, v30
	v_add_f16_e32 v27, v34, v27
	v_add_f16_e64 v31, v112, v148
	v_mul_f16_e64 v75, 0x39e9, v154
	v_mul_f16_e64 v154, 0xb8d2, v154
	v_add_f16_e32 v58, v77, v62
	v_add_f16_e64 v62, v131, v127
	v_mul_f16_e32 v89, 0xb461, v89
	v_alignbit_b32 v165, v165, v165, 16
	v_pk_add_f16 v1, v2, v1
	v_pk_add_f16 v0, v150, v0
	v_bfi_b32 v2, 0xffff, v122, v121
	v_add_f16_e32 v6, v7, v6
	v_add_f16_e64 v7, v108, v144
	v_add_f16_e32 v4, v4, v8
	v_sub_f16_e64 v5, v130, v106
	v_add_f16_e32 v50, v54, v50
	v_add_f16_e64 v54, v137, v149
	v_sub_f16_e64 v29, v140, v64
	v_add_f16_e32 v27, v31, v27
	v_add_f16_e32 v31, v120, v116
	v_sub_f16_e32 v23, v59, v60
	v_add_f16_e64 v109, v147, v109
	v_add_f16_e64 v147, v162, v154
	v_add_f16_e32 v58, v62, v58
	v_add_f16_e64 v62, v152, v75
	v_pk_add_f16 v1, v3, v1
	v_pk_add_f16 v0, v156, v0
	v_pk_add_f16 v2, v89, v2 neg_lo:[0,1] neg_hi:[0,1]
	v_pk_add_f16 v3, v165, v121
	v_add_f16_e32 v6, v7, v6
	v_add_f16_e32 v4, v5, v4
	v_and_b32_e32 v5, 0xffff, v39
	v_add_f16_e32 v49, v54, v50
	v_add_f16_e32 v28, v29, v30
	;; [unrolled: 1-line block ×4, first 2 shown]
	v_add_f16_e64 v99, v147, v109
	v_add_f16_e32 v56, v62, v58
	v_pk_add_f16 v0, v166, v0
	v_bfi_b32 v2, 0xffff, v2, v3
	v_lshlrev_b32_e32 v5, 2, v5
	v_pk_add_f16 v1, v14, v1
	v_pack_b32_f16 v4, v4, v6
	v_pack_b32_f16 v3, v28, v49
	;; [unrolled: 1-line block ×5, first 2 shown]
	v_pk_add_f16 v0, v2, v0
	v_pack_b32_f16 v2, v70, v71
	ds_store_2addr_b32 v5, v1, v4 offset1:1
	ds_store_2addr_b32 v5, v6, v3 offset0:2 offset1:3
	ds_store_2addr_b32 v5, v8, v7 offset0:4 offset1:5
	ds_store_2addr_b32 v5, v2, v0 offset0:6 offset1:7
	v_perm_b32 v0, v67, v68, 0x5040100
	v_alignbit_b32 v1, v66, v67, 16
	v_perm_b32 v2, v46, v21, 0x5040100
	v_bfi_b32 v3, 0xffff, v65, v68
	v_perm_b32 v4, v44, v19, 0x5040100
	v_perm_b32 v6, v45, v18, 0x5040100
	;; [unrolled: 1-line block ×5, first 2 shown]
	ds_store_2addr_b32 v5, v0, v1 offset0:8 offset1:9
	ds_store_2addr_b32 v5, v3, v2 offset0:10 offset1:11
	ds_store_2addr_b32 v5, v6, v4 offset0:12 offset1:13
	ds_store_2addr_b32 v5, v8, v7 offset0:14 offset1:15
	ds_store_b32 v5, v9 offset:64
.LBB0_7:
	s_wait_alu 0xfffe
	s_or_b32 exec_lo, exec_lo, s0
	v_and_b32_e32 v0, 0xff, v38
	s_load_b128 s[4:7], s[2:3], 0x0
	global_wb scope:SCOPE_SE
	s_wait_dscnt 0x0
	s_wait_kmcnt 0x0
	s_barrier_signal -1
	s_barrier_wait -1
	v_mul_lo_u16 v0, 0xf1, v0
	global_inv scope:SCOPE_SE
	v_add_nc_u32_e32 v6, 0x500, v37
	v_add_nc_u32_e32 v8, 0xb00, v37
	;; [unrolled: 1-line block ×3, first 2 shown]
	v_lshrrev_b16 v20, 12, v0
	v_cmp_gt_u16_e64 s0, 0x88, v38
	v_lshrrev_b32_e32 v27, 16, v67
	s_delay_alu instid0(VALU_DEP_3) | instskip(SKIP_1) | instid1(VALU_DEP_2)
	v_mul_lo_u16 v0, v20, 17
	v_and_b32_e32 v20, 0xffff, v20
	v_sub_nc_u16 v0, v38, v0
	s_delay_alu instid0(VALU_DEP_2) | instskip(NEXT) | instid1(VALU_DEP_2)
	v_mul_u32_u24_e32 v20, 0x88, v20
	v_and_b32_e32 v22, 0xff, v0
	s_delay_alu instid0(VALU_DEP_1) | instskip(NEXT) | instid1(VALU_DEP_3)
	v_mad_co_u64_u32 v[4:5], null, v22, 28, s[8:9]
	v_add_lshl_u32 v47, v20, v22, 2
	s_clause 0x1
	global_load_b128 v[0:3], v[4:5], off
	global_load_b96 v[12:14], v[4:5], off offset:16
	ds_load_2addr_b32 v[4:5], v37 offset1:187
	ds_load_2addr_b32 v[6:7], v6 offset0:54 offset1:241
	ds_load_2addr_b32 v[8:9], v8 offset0:44 offset1:231
	;; [unrolled: 1-line block ×3, first 2 shown]
	global_wb scope:SCOPE_SE
	s_wait_loadcnt_dscnt 0x0
	s_barrier_signal -1
	s_barrier_wait -1
	global_inv scope:SCOPE_SE
	v_lshrrev_b32_e32 v25, 16, v6
	v_lshrrev_b32_e32 v24, 16, v5
	;; [unrolled: 1-line block ×15, first 2 shown]
	v_mul_f16_e32 v20, v24, v62
	v_mul_f16_e32 v22, v5, v62
	;; [unrolled: 1-line block ×14, first 2 shown]
	v_fma_f16 v5, v5, v0, -v20
	v_fmac_f16_e32 v22, v24, v0
	v_fma_f16 v6, v6, v1, -v32
	v_fmac_f16_e32 v33, v25, v1
	;; [unrolled: 2-line block ×7, first 2 shown]
	v_sub_f16_e32 v8, v4, v8
	v_sub_f16_e32 v20, v23, v49
	;; [unrolled: 1-line block ×8, first 2 shown]
	v_fma_f16 v4, v4, 2.0, -v8
	v_fma_f16 v23, v23, 2.0, -v20
	;; [unrolled: 1-line block ×8, first 2 shown]
	v_sub_f16_e32 v24, v8, v24
	v_add_f16_e32 v10, v20, v10
	v_sub_f16_e32 v26, v9, v26
	v_add_f16_e32 v11, v25, v11
	v_sub_f16_e32 v6, v4, v6
	v_sub_f16_e32 v33, v23, v28
	v_fma_f16 v8, v8, 2.0, -v24
	v_fma_f16 v34, v20, 2.0, -v10
	v_sub_f16_e32 v7, v5, v7
	v_sub_f16_e32 v20, v22, v29
	v_fma_f16 v9, v9, 2.0, -v26
	v_fma_f16 v25, v25, 2.0, -v11
	v_fmamk_f16 v29, v26, 0x39a8, v24
	v_fmamk_f16 v71, v11, 0x39a8, v10
	v_fma_f16 v4, v4, 2.0, -v6
	v_fma_f16 v23, v23, 2.0, -v33
	;; [unrolled: 1-line block ×4, first 2 shown]
	v_fmamk_f16 v31, v9, 0xb9a8, v8
	v_fmamk_f16 v72, v25, 0xb9a8, v34
	v_sub_f16_e32 v28, v6, v20
	v_add_f16_e32 v73, v33, v7
	v_fmac_f16_e32 v29, 0xb9a8, v11
	v_fmac_f16_e32 v71, 0x39a8, v26
	v_sub_f16_e32 v30, v4, v5
	v_sub_f16_e32 v74, v23, v22
	v_fmac_f16_e32 v31, 0xb9a8, v25
	v_fmac_f16_e32 v72, 0x39a8, v9
	v_fma_f16 v32, v6, 2.0, -v28
	v_fma_f16 v75, v33, 2.0, -v73
	;; [unrolled: 1-line block ×8, first 2 shown]
	v_pack_b32_f16 v5, v28, v73
	v_pack_b32_f16 v6, v29, v71
	;; [unrolled: 1-line block ×8, first 2 shown]
	ds_store_2addr_b32 v47, v5, v6 offset0:102 offset1:119
	ds_store_2addr_b32 v47, v4, v7 offset0:34 offset1:51
	;; [unrolled: 1-line block ×3, first 2 shown]
	ds_store_2addr_b32 v47, v10, v11 offset1:17
	global_wb scope:SCOPE_SE
	s_wait_dscnt 0x0
	s_barrier_signal -1
	s_barrier_wait -1
	global_inv scope:SCOPE_SE
	s_and_saveexec_b32 s1, s0
	s_cbranch_execz .LBB0_9
; %bb.8:
	v_add_nc_u32_e32 v4, 0x400, v37
	v_add_nc_u32_e32 v5, 0x800, v37
	;; [unrolled: 1-line block ×3, first 2 shown]
	ds_load_2addr_b32 v[24:25], v37 offset1:136
	ds_load_2addr_b32 v[32:33], v4 offset0:16 offset1:152
	v_add_nc_u32_e32 v4, 0x1000, v37
	ds_load_2addr_b32 v[30:31], v5 offset0:32 offset1:168
	ds_load_2addr_b32 v[28:29], v6 offset0:48 offset1:184
	;; [unrolled: 1-line block ×3, first 2 shown]
	ds_load_b32 v65, v37 offset:5440
	s_wait_dscnt 0x5
	v_lshrrev_b32_e32 v20, 16, v24
	v_lshrrev_b32_e32 v77, 16, v25
	s_wait_dscnt 0x4
	v_lshrrev_b32_e32 v75, 16, v32
	v_lshrrev_b32_e32 v76, 16, v33
	;; [unrolled: 3-line block ×5, first 2 shown]
	s_wait_dscnt 0x0
	v_bfi_b32 v68, 0xffff, v26, v65
.LBB0_9:
	s_wait_alu 0xfffe
	s_or_b32 exec_lo, exec_lo, s1
	v_add_nc_u32_e32 v4, 0xffffff78, v38
	s_delay_alu instid0(VALU_DEP_2) | instskip(NEXT) | instid1(VALU_DEP_2)
	v_lshrrev_b32_e32 v78, 16, v68
	v_cndmask_b32_e64 v4, v4, v38, s0
	s_delay_alu instid0(VALU_DEP_1) | instskip(SKIP_1) | instid1(VALU_DEP_2)
	v_mul_i32_i24_e32 v5, 40, v4
	v_mul_hi_i32_i24_e32 v4, 40, v4
	v_add_co_u32 v22, s1, s8, v5
	s_wait_alu 0xf1ff
	s_delay_alu instid0(VALU_DEP_2)
	v_add_co_ci_u32_e64 v23, s1, s9, v4, s1
	s_clause 0x2
	global_load_b128 v[8:11], v[22:23], off offset:476
	global_load_b128 v[4:7], v[22:23], off offset:492
	global_load_b64 v[22:23], v[22:23], off offset:508
	s_wait_loadcnt 0x2
	v_lshrrev_b32_e32 v63, 16, v8
	v_lshrrev_b32_e32 v60, 16, v9
	v_lshrrev_b32_e32 v50, 16, v11
	s_wait_loadcnt 0x1
	v_lshrrev_b32_e32 v48, 16, v4
	v_lshrrev_b32_e32 v49, 16, v5
	;; [unrolled: 1-line block ×3, first 2 shown]
	s_wait_loadcnt 0x0
	v_lshrrev_b32_e32 v61, 16, v22
	v_lshrrev_b32_e32 v64, 16, v23
	v_mul_f16_e32 v79, v77, v63
	v_mul_f16_e32 v80, v25, v63
	v_lshrrev_b32_e32 v52, 16, v10
	v_lshrrev_b32_e32 v54, 16, v7
	v_mul_f16_e32 v81, v75, v60
	v_mul_f16_e32 v82, v32, v60
	;; [unrolled: 1-line block ×10, first 2 shown]
	v_fma_f16 v79, v25, v8, -v79
	v_fmac_f16_e32 v80, v77, v8
	v_mul_f16_e32 v83, v76, v52
	v_mul_f16_e32 v84, v33, v52
	;; [unrolled: 1-line block ×8, first 2 shown]
	v_fma_f16 v32, v32, v9, -v81
	v_fmac_f16_e32 v82, v75, v9
	v_fmac_f16_e32 v86, v74, v11
	v_fma_f16 v74, v31, v4, -v87
	v_fmac_f16_e32 v88, v72, v4
	v_fma_f16 v72, v28, v5, -v89
	v_fma_f16 v28, v29, v6, -v90
	;; [unrolled: 1-line block ×4, first 2 shown]
	v_fmac_f16_e32 v34, v78, v23
	v_add_f16_e32 v27, v24, v79
	v_add_f16_e32 v29, v20, v80
	v_fma_f16 v33, v33, v10, -v83
	v_fmac_f16_e32 v84, v76, v10
	v_fma_f16 v30, v30, v11, -v85
	v_fmac_f16_e32 v70, v73, v5
	v_fmac_f16_e32 v69, v71, v6
	v_fma_f16 v25, v68, v7, -v91
	v_fmac_f16_e32 v26, v67, v7
	v_fmac_f16_e32 v35, v66, v22
	v_sub_f16_e32 v68, v79, v65
	v_sub_f16_e32 v71, v80, v34
	v_add_f16_e32 v27, v27, v32
	v_add_f16_e32 v29, v29, v82
	v_add_f16_e32 v66, v79, v65
	v_add_f16_e32 v67, v80, v34
	v_add_f16_e32 v73, v32, v31
	v_add_f16_e32 v75, v82, v35
	v_sub_f16_e32 v76, v32, v31
	v_sub_f16_e32 v77, v82, v35
	v_sub_f16_e32 v80, v33, v25
	v_sub_f16_e32 v81, v84, v26
	v_sub_f16_e32 v87, v30, v28
	v_sub_f16_e32 v89, v86, v69
	v_sub_f16_e32 v92, v74, v72
	v_sub_f16_e32 v93, v88, v70
	v_mul_f16_e32 v32, 0xb853, v71
	v_mul_f16_e32 v82, 0xb853, v68
	;; [unrolled: 1-line block ×9, first 2 shown]
	v_add_f16_e32 v27, v27, v33
	v_add_f16_e32 v29, v29, v84
	;; [unrolled: 1-line block ×8, first 2 shown]
	v_mul_f16_e32 v68, 0xb482, v68
	v_mul_f16_e32 v100, 0xbb47, v77
	;; [unrolled: 1-line block ×35, first 2 shown]
	v_mul_f16_e64 v128, 0xba0c, v93
	v_mul_f16_e64 v129, 0xba0c, v92
	;; [unrolled: 1-line block ×4, first 2 shown]
	v_mul_f16_e32 v93, 0xbbeb, v93
	v_mul_f16_e32 v92, 0xbbeb, v92
	v_fma_f16 v33, v66, 0x3abb, -v32
	v_fmamk_f16 v84, v67, 0x3abb, v82
	v_fma_f16 v132, v66, 0x36a6, -v94
	v_fma_f16 v133, 0x36a6, v67, v95
	v_fmac_f16_e32 v94, 0x36a6, v66
	v_fma_f16 v95, v67, 0x36a6, -v95
	v_fma_f16 v134, v66, 0xb08e, -v96
	v_fma_f16 v135, 0xb08e, v67, v97
	v_fmac_f16_e32 v96, 0xb08e, v66
	v_fma_f16 v137, 0xb93d, v67, v99
	v_fma_f16 v99, v67, 0xb93d, -v99
	v_fma_f16 v138, v66, 0xbbad, -v71
	v_add_f16_e32 v27, v27, v30
	v_add_f16_e32 v29, v29, v86
	v_fmac_f16_e32 v32, 0x3abb, v66
	v_fma_f16 v82, v67, 0x3abb, -v82
	v_fma_f16 v97, v67, 0xb08e, -v97
	;; [unrolled: 1-line block ×3, first 2 shown]
	v_fmac_f16_e32 v98, 0xb93d, v66
	v_fma_f16 v139, 0xbbad, v67, v68
	v_fmac_f16_e32 v71, 0xbbad, v66
	v_fma_f16 v66, v67, 0xbbad, -v68
	v_fma_f16 v67, v73, 0x36a6, -v100
	v_fmamk_f16 v68, v75, 0x36a6, v101
	v_fmac_f16_e32 v100, 0x36a6, v73
	v_fma_f16 v101, v75, 0x36a6, -v101
	v_fma_f16 v140, v73, 0xb93d, -v102
	v_fma_f16 v141, 0xb93d, v75, v103
	v_fmac_f16_e32 v102, 0xb93d, v73
	v_fma_f16 v103, v75, 0xb93d, -v103
	v_fma_f16 v142, v73, 0xbbad, -v104
	v_fma_f16 v143, 0xbbad, v75, v105
	v_fmac_f16_e32 v104, 0xbbad, v73
	v_fma_f16 v105, v75, 0xbbad, -v105
	v_fma_f16 v144, v73, 0xb08e, -v106
	v_fma_f16 v145, 0xb08e, v75, v107
	v_fmac_f16_e32 v106, 0xb08e, v73
	v_fma_f16 v107, v75, 0xb08e, -v107
	v_fma_f16 v146, v73, 0x3abb, -v77
	v_fma_f16 v147, 0x3abb, v75, v76
	v_fmac_f16_e32 v77, 0x3abb, v73
	v_fma_f16 v73, v75, 0x3abb, -v76
	v_fma_f16 v75, v78, 0xb08e, -v108
	v_fmamk_f16 v76, v79, 0xb08e, v109
	v_fmac_f16_e32 v108, 0xb08e, v78
	v_fma_f16 v109, v79, 0xb08e, -v109
	v_fma_f16 v148, v78, 0xbbad, -v110
	v_fma_f16 v149, 0xbbad, v79, v111
	v_fmac_f16_e32 v110, 0xbbad, v78
	v_fma_f16 v111, v79, 0xbbad, -v111
	v_fma_f16 v150, v78, 0x36a6, -v112
	v_fma_f16 v151, 0x36a6, v79, v113
	v_fmac_f16_e32 v112, 0x36a6, v78
	v_fma_f16 v113, v79, 0x36a6, -v113
	v_fma_f16 v152, v78, 0x3abb, -v114
	v_fma_f16 v153, 0x3abb, v79, v115
	v_fmac_f16_e32 v114, 0x3abb, v78
	v_fma_f16 v115, v79, 0x3abb, -v115
	v_fma_f16 v154, v78, 0xb93d, -v81
	;; [unrolled: 20-line block ×3, first 2 shown]
	v_fma_f16 v163, 0x36a6, v85, v87
	v_fmac_f16_e32 v89, 0x36a6, v83
	v_fma_f16 v83, v85, 0x36a6, -v87
	v_fma_f16 v85, v90, 0xbbad, -v124
	v_fmamk_f16 v87, v91, 0xbbad, v125
	v_fmac_f16_e32 v124, 0xbbad, v90
	v_fma_f16 v125, v91, 0xbbad, -v125
	v_fma_f16 v164, v90, 0x3abb, -v126
	v_fma_f16 v165, 0x3abb, v91, v127
	v_fmac_f16_e32 v126, 0x3abb, v90
	v_fma_f16 v127, v91, 0x3abb, -v127
	v_fma_f16 v166, v90, 0xb93d, -v128
	v_fma_f16 v167, 0xb93d, v91, v129
	v_fmac_f16_e64 v128, 0xb93d, v90
	v_fma_f16 v129, v91, 0xb93d, -v129
	v_fma_f16 v168, v90, 0x36a6, -v130
	v_fma_f16 v169, 0x36a6, v91, v131
	v_fmac_f16_e64 v130, 0x36a6, v90
	v_fma_f16 v131, v91, 0x36a6, -v131
	v_fma_f16 v170, v90, 0xb08e, -v93
	v_fma_f16 v171, 0xb08e, v91, v92
	v_fmac_f16_e32 v93, 0xb08e, v90
	v_fma_f16 v90, v91, 0xb08e, -v92
	v_add_f16_e32 v30, v24, v33
	v_add_f16_e32 v33, v20, v84
	v_add_f16_e64 v84, v24, v132
	v_add_f16_e64 v86, v20, v133
	v_add_f16_e32 v91, v24, v94
	v_add_f16_e32 v92, v20, v95
	v_add_f16_e64 v94, v24, v134
	v_add_f16_e64 v95, v20, v135
	v_add_f16_e32 v96, v24, v96
	v_add_f16_e32 v99, v20, v99
	v_add_f16_e64 v134, v24, v138
	v_add_f16_e32 v27, v27, v74
	v_add_f16_e32 v29, v29, v88
	;; [unrolled: 1-line block ×5, first 2 shown]
	v_add_f16_e64 v132, v24, v136
	v_add_f16_e64 v133, v20, v137
	v_add_f16_e32 v98, v24, v98
	v_add_f16_e64 v135, v20, v139
	v_add_f16_e32 v24, v24, v71
	v_add_f16_e32 v20, v20, v66
	;; [unrolled: 1-line block ×4, first 2 shown]
	v_add_f16_e64 v67, v140, v84
	v_add_f16_e64 v68, v141, v86
	v_add_f16_e32 v71, v102, v91
	v_add_f16_e32 v74, v103, v92
	v_add_f16_e64 v84, v143, v95
	v_add_f16_e32 v86, v104, v96
	v_add_f16_e32 v95, v107, v99
	;; [unrolled: 3-line block ×3, first 2 shown]
	v_add_f16_e32 v32, v100, v32
	v_add_f16_e32 v66, v101, v82
	v_add_f16_e64 v82, v142, v94
	v_add_f16_e32 v88, v105, v97
	v_add_f16_e64 v91, v144, v132
	v_add_f16_e64 v92, v145, v133
	v_add_f16_e32 v94, v106, v98
	v_add_f16_e64 v97, v147, v135
	v_add_f16_e32 v24, v77, v24
	v_add_f16_e32 v20, v73, v20
	;; [unrolled: 1-line block ×4, first 2 shown]
	v_add_f16_e64 v68, v149, v68
	v_add_f16_e32 v70, v110, v71
	v_add_f16_e32 v71, v111, v74
	v_add_f16_e64 v73, v151, v84
	v_add_f16_e32 v74, v112, v86
	v_add_f16_e32 v84, v115, v95
	;; [unrolled: 3-line block ×3, first 2 shown]
	v_add_f16_e32 v32, v108, v32
	v_add_f16_e32 v66, v109, v66
	v_add_f16_e64 v67, v148, v67
	v_add_f16_e64 v72, v150, v82
	v_add_f16_e32 v75, v113, v88
	v_add_f16_e64 v76, v152, v91
	v_add_f16_e64 v77, v153, v92
	v_add_f16_e32 v82, v114, v94
	v_add_f16_e64 v88, v155, v97
	v_add_f16_e32 v24, v81, v24
	v_add_f16_e32 v20, v78, v20
	v_add_f16_e32 v29, v79, v30
	v_add_f16_e32 v30, v80, v33
	v_add_f16_e64 v68, v157, v68
	v_add_f16_e32 v80, v123, v84
	v_add_f16_e64 v81, v162, v86
	v_add_f16_e32 v84, v27, v25
	v_add_f16_e32 v86, v28, v26
	;; [unrolled: 1-line block ×4, first 2 shown]
	v_add_f16_e64 v67, v156, v67
	v_add_f16_e32 v69, v118, v70
	v_add_f16_e32 v70, v119, v71
	v_add_f16_e64 v71, v158, v72
	v_add_f16_e64 v72, v159, v73
	v_add_f16_e32 v78, v120, v74
	v_add_f16_e32 v75, v121, v75
	v_add_f16_e64 v76, v160, v76
	v_add_f16_e64 v77, v161, v77
	v_add_f16_e32 v79, v122, v82
	v_add_f16_e64 v82, v163, v88
	v_add_f16_e32 v24, v89, v24
	v_add_f16_e32 v83, v83, v20
	v_add_f16_e64 v73, v165, v68
	v_add_f16_e32 v68, v84, v31
	v_add_f16_e32 v35, v86, v35
	;; [unrolled: 1-line block ×6, first 2 shown]
	v_add_f16_e64 v28, v164, v67
	v_add_f16_e32 v27, v126, v69
	v_add_f16_e32 v67, v127, v70
	v_add_f16_e64 v29, v166, v71
	v_add_f16_e64 v72, v167, v72
	;; [unrolled: 1-line block ×10, first 2 shown]
	v_add_f16_e32 v32, v93, v24
	v_add_f16_e32 v24, v68, v65
	;; [unrolled: 1-line block ×4, first 2 shown]
	s_and_saveexec_b32 s1, s0
	s_cbranch_execz .LBB0_11
; %bb.10:
	s_delay_alu instid0(VALU_DEP_2)
	v_perm_b32 v34, v65, v24, 0x5040100
	v_perm_b32 v35, v74, v25, 0x5040100
	;; [unrolled: 1-line block ×4, first 2 shown]
	v_add_nc_u32_e32 v78, 0x400, v37
	v_add_nc_u32_e32 v79, 0x800, v37
	ds_store_2addr_b32 v37, v34, v35 offset1:136
	v_perm_b32 v34, v71, v30, 0x5040100
	v_perm_b32 v35, v76, v31, 0x5040100
	;; [unrolled: 1-line block ×4, first 2 shown]
	v_add_nc_u32_e32 v82, 0xc00, v37
	v_perm_b32 v83, v69, v26, 0x5040100
	v_perm_b32 v84, v67, v27, 0x5040100
	v_add_nc_u32_e32 v85, 0x1000, v37
	v_perm_b32 v86, v66, v20, 0x5040100
	ds_store_2addr_b32 v78, v68, v77 offset0:16 offset1:152
	ds_store_2addr_b32 v79, v34, v35 offset0:32 offset1:168
	;; [unrolled: 1-line block ×4, first 2 shown]
	ds_store_b32 v37, v86 offset:5440
.LBB0_11:
	s_wait_alu 0xfffe
	s_or_b32 exec_lo, exec_lo, s1
	global_wb scope:SCOPE_SE
	s_wait_dscnt 0x0
	s_barrier_signal -1
	s_barrier_wait -1
	global_inv scope:SCOPE_SE
	s_and_saveexec_b32 s1, vcc_lo
	s_cbranch_execz .LBB0_13
; %bb.12:
	global_load_b32 v34, v37, s[12:13] offset:5984
	s_add_nc_u64 s[2:3], s[12:13], 0x1760
	s_clause 0xf
	global_load_b32 v68, v37, s[2:3] offset:352
	global_load_b32 v91, v37, s[2:3] offset:704
	;; [unrolled: 1-line block ×16, first 2 shown]
	ds_load_b32 v35, v37
	v_add_nc_u32_e32 v106, 0x400, v37
	v_add_nc_u32_e32 v107, 0x600, v37
	;; [unrolled: 1-line block ×7, first 2 shown]
	s_wait_dscnt 0x0
	v_lshrrev_b32_e32 v77, 16, v35
	s_wait_loadcnt 0xf
	v_lshrrev_b32_e32 v113, 16, v68
	s_wait_loadcnt 0xe
	;; [unrolled: 2-line block ×12, first 2 shown]
	v_lshrrev_b32_e32 v124, 16, v101
	v_lshrrev_b32_e32 v78, 16, v34
	s_wait_loadcnt 0x3
	v_lshrrev_b32_e32 v125, 16, v102
	s_wait_loadcnt 0x2
	v_lshrrev_b32_e32 v126, 16, v103
	s_wait_loadcnt 0x1
	v_lshrrev_b32_e32 v127, 16, v104
	s_wait_loadcnt 0x0
	v_lshrrev_b32_e32 v128, 16, v105
	v_mul_f16_e32 v79, v77, v78
	v_mul_f16_e32 v78, v35, v78
	s_delay_alu instid0(VALU_DEP_2) | instskip(NEXT) | instid1(VALU_DEP_2)
	v_fma_f16 v35, v35, v34, -v79
	v_fmac_f16_e32 v78, v77, v34
	s_delay_alu instid0(VALU_DEP_1)
	v_pack_b32_f16 v34, v35, v78
	ds_store_b32 v37, v34
	ds_load_2addr_b32 v[34:35], v37 offset0:88 offset1:176
	ds_load_2addr_b32 v[77:78], v106 offset0:8 offset1:96
	;; [unrolled: 1-line block ×8, first 2 shown]
	s_wait_dscnt 0x7
	v_lshrrev_b32_e32 v129, 16, v34
	v_lshrrev_b32_e32 v131, 16, v35
	s_wait_dscnt 0x6
	v_lshrrev_b32_e32 v133, 16, v77
	v_lshrrev_b32_e32 v135, 16, v78
	;; [unrolled: 3-line block ×5, first 2 shown]
	v_mul_f16_e64 v130, v34, v113
	v_mul_f16_e64 v132, v35, v114
	s_wait_dscnt 0x2
	v_lshrrev_b32_e32 v149, 16, v85
	v_lshrrev_b32_e32 v151, 16, v86
	s_wait_dscnt 0x1
	v_lshrrev_b32_e32 v153, 16, v87
	v_lshrrev_b32_e32 v155, 16, v88
	;; [unrolled: 3-line block ×3, first 2 shown]
	v_mul_f16_e64 v113, v129, v113
	v_mul_f16_e64 v114, v131, v114
	;; [unrolled: 1-line block ×24, first 2 shown]
	v_fmac_f16_e64 v130, v129, v68
	v_fmac_f16_e64 v132, v131, v91
	v_mul_f16_e64 v123, v149, v123
	v_mul_f16_e64 v124, v151, v124
	;; [unrolled: 1-line block ×6, first 2 shown]
	v_fma_f16 v34, v34, v68, -v113
	v_fma_f16 v35, v35, v91, -v114
	v_fmac_f16_e64 v134, v133, v92
	v_fmac_f16_e64 v136, v135, v93
	v_fma_f16 v68, v77, v92, -v115
	v_fma_f16 v77, v78, v93, -v116
	v_fmac_f16_e64 v138, v137, v94
	v_fmac_f16_e64 v140, v139, v95
	;; [unrolled: 4-line block ×5, first 2 shown]
	v_fmac_f16_e64 v154, v153, v102
	v_fmac_f16_e64 v156, v155, v103
	v_fmac_f16_e64 v158, v157, v104
	v_fmac_f16_e64 v160, v159, v105
	v_fma_f16 v84, v85, v100, -v123
	v_fma_f16 v85, v86, v101, -v124
	;; [unrolled: 1-line block ×6, first 2 shown]
	v_pack_b32_f16 v34, v34, v130
	v_pack_b32_f16 v35, v35, v132
	;; [unrolled: 1-line block ×16, first 2 shown]
	ds_store_2addr_b32 v37, v34, v35 offset0:88 offset1:176
	ds_store_2addr_b32 v106, v68, v77 offset0:8 offset1:96
	;; [unrolled: 1-line block ×8, first 2 shown]
.LBB0_13:
	s_wait_alu 0xfffe
	s_or_b32 exec_lo, exec_lo, s1
	global_wb scope:SCOPE_SE
	s_wait_dscnt 0x0
	s_barrier_signal -1
	s_barrier_wait -1
	global_inv scope:SCOPE_SE
	s_and_saveexec_b32 s1, vcc_lo
	s_cbranch_execz .LBB0_15
; %bb.14:
	v_add_nc_u32_e32 v16, 0x200, v37
	v_add_nc_u32_e32 v17, 0x400, v37
	;; [unrolled: 1-line block ×3, first 2 shown]
	ds_load_2addr_b32 v[24:25], v37 offset1:88
	ds_load_2addr_b32 v[28:29], v16 offset0:48 offset1:136
	v_add_nc_u32_e32 v16, 0xa00, v37
	ds_load_2addr_b32 v[30:31], v17 offset0:96 offset1:184
	v_add_nc_u32_e32 v17, 0xc00, v37
	;; [unrolled: 2-line block ×4, first 2 shown]
	ds_load_2addr_b32 v[20:21], v17 offset0:112 offset1:200
	ds_load_2addr_b32 v[18:19], v18 offset0:32 offset1:120
	;; [unrolled: 1-line block ×3, first 2 shown]
	ds_load_b32 v40, v37 offset:5632
	s_wait_dscnt 0x8
	v_lshrrev_b32_e32 v65, 16, v24
	v_lshrrev_b32_e32 v74, 16, v25
	s_wait_dscnt 0x7
	v_lshrrev_b32_e32 v73, 16, v28
	v_lshrrev_b32_e32 v72, 16, v29
	;; [unrolled: 3-line block ×8, first 2 shown]
	s_wait_dscnt 0x0
	v_lshrrev_b32_e32 v41, 16, v40
.LBB0_15:
	s_wait_alu 0xfffe
	s_or_b32 exec_lo, exec_lo, s1
	s_delay_alu instid0(VALU_DEP_1)
	v_sub_f16_e32 v98, v74, v41
	v_add_f16_e32 v104, v41, v74
	v_add_f16_e32 v80, v40, v25
	v_sub_f16_e32 v82, v25, v40
	v_sub_f16_e32 v100, v73, v42
	v_mul_f16_e32 v96, 0xb836, v98
	v_mul_f16_e32 v97, 0xbacd, v104
	;; [unrolled: 1-line block ×3, first 2 shown]
	v_add_f16_e32 v107, v42, v73
	v_mul_f16_e32 v35, 0xbbdd, v104
	v_fma_f16 v68, v80, 0xbacd, -v96
	v_fmamk_f16 v77, v82, 0xb836, v97
	v_fmamk_f16 v78, v80, 0xbbdd, v34
	v_fma_f16 v34, v80, 0xbbdd, -v34
	v_add_f16_e32 v81, v17, v28
	v_mul_f16_e32 v99, 0x3b29, v100
	v_sub_f16_e32 v84, v28, v17
	v_mul_f16_e32 v102, 0x3722, v107
	v_mul_f16_e32 v83, 0x35c8, v100
	v_fmamk_f16 v79, v82, 0x31e1, v35
	v_add_f16_e32 v68, v24, v68
	v_add_f16_e32 v77, v65, v77
	;; [unrolled: 1-line block ×3, first 2 shown]
	v_fmac_f16_e32 v35, 0xb1e1, v82
	v_fma_f16 v85, v81, 0x3722, -v99
	v_mul_f16_e32 v86, 0x3b76, v107
	v_fmamk_f16 v87, v84, 0x3b29, v102
	v_fmamk_f16 v88, v81, 0x3b76, v83
	v_fma_f16 v83, v81, 0x3b76, -v83
	v_sub_f16_e32 v101, v72, v43
	v_add_f16_e32 v78, v24, v78
	v_add_f16_e32 v79, v65, v79
	;; [unrolled: 1-line block ×4, first 2 shown]
	v_fmamk_f16 v85, v84, 0xb5c8, v86
	v_add_f16_e32 v77, v87, v77
	v_add_f16_e32 v111, v43, v72
	;; [unrolled: 1-line block ×4, first 2 shown]
	v_mul_f16_e32 v105, 0xbbf7, v101
	v_fmac_f16_e32 v86, 0x35c8, v84
	v_mul_f16_e32 v87, 0xb836, v101
	v_add_f16_e32 v78, v88, v78
	v_add_f16_e32 v79, v85, v79
	v_sub_f16_e32 v85, v29, v16
	v_mul_f16_e32 v110, 0x2de8, v111
	v_fma_f16 v88, v83, 0x2de8, -v105
	v_mul_f16_e32 v89, 0xbacd, v111
	v_add_f16_e32 v35, v86, v35
	v_fmamk_f16 v86, v83, 0xbacd, v87
	v_sub_f16_e32 v103, v71, v44
	v_fmamk_f16 v90, v85, 0xbbf7, v110
	v_add_f16_e32 v68, v88, v68
	v_fmamk_f16 v88, v85, 0x3836, v89
	v_fma_f16 v87, v83, 0xbacd, -v87
	v_add_f16_e32 v78, v86, v78
	v_add_f16_e32 v108, v44, v71
	;; [unrolled: 1-line block ×3, first 2 shown]
	v_mul_f16_e32 v115, 0x3a62, v103
	v_add_f16_e32 v77, v90, v77
	v_add_f16_e32 v79, v88, v79
	;; [unrolled: 1-line block ×3, first 2 shown]
	v_sub_f16_e32 v87, v30, v19
	v_fmac_f16_e32 v89, 0xb836, v85
	v_mul_f16_e32 v88, 0x3964, v103
	v_fma_f16 v90, v86, 0xb8d2, -v115
	v_mul_f16_e32 v91, 0x39e9, v108
	v_mul_f16_e32 v119, 0xb8d2, v108
	v_add_f16_e32 v35, v89, v35
	v_fmamk_f16 v89, v86, 0x39e9, v88
	v_add_f16_e32 v68, v90, v68
	v_fmamk_f16 v90, v87, 0xb964, v91
	v_fma_f16 v88, v86, 0x39e9, -v88
	v_sub_f16_e32 v106, v76, v45
	v_fmamk_f16 v92, v87, 0x3a62, v119
	v_add_f16_e32 v112, v45, v76
	v_add_f16_e32 v79, v90, v79
	;; [unrolled: 1-line block ×4, first 2 shown]
	v_mul_f16_e32 v120, 0xb5c8, v106
	v_fmac_f16_e32 v91, 0x3964, v87
	v_mul_f16_e32 v90, 0xba62, v106
	v_add_f16_e32 v77, v92, v77
	v_add_f16_e32 v78, v89, v78
	v_sub_f16_e32 v89, v31, v18
	v_mul_f16_e32 v121, 0x3b76, v112
	v_fma_f16 v92, v88, 0x3b76, -v120
	v_mul_f16_e32 v93, 0xb8d2, v112
	v_add_f16_e32 v35, v91, v35
	v_fmamk_f16 v91, v88, 0xb8d2, v90
	v_add_f16_e32 v114, v46, v75
	v_fmamk_f16 v94, v89, 0xb5c8, v121
	;; [unrolled: 2-line block ×3, first 2 shown]
	v_fma_f16 v90, v88, 0xb8d2, -v90
	v_add_f16_e32 v78, v91, v78
	v_sub_f16_e32 v109, v75, v46
	v_sub_f16_e32 v91, v32, v21
	v_mul_f16_e32 v124, 0xbbdd, v114
	v_add_f16_e32 v77, v94, v77
	v_add_f16_e32 v79, v92, v79
	;; [unrolled: 1-line block ×4, first 2 shown]
	v_mul_f16_e32 v122, 0xb1e1, v109
	v_fmac_f16_e32 v93, 0xba62, v89
	v_mul_f16_e32 v92, 0x3b29, v109
	v_fmamk_f16 v113, v91, 0xb1e1, v124
	v_mul_f16_e32 v95, 0x3722, v114
	v_fma_f16 v94, v90, 0xbbdd, -v122
	v_add_f16_e32 v35, v93, v35
	v_fmamk_f16 v93, v90, 0x3722, v92
	v_add_f16_e32 v77, v113, v77
	v_fma_f16 v92, v90, 0x3722, -v92
	v_sub_f16_e32 v113, v70, v66
	v_add_f16_e32 v68, v94, v68
	v_fmamk_f16 v94, v91, 0xbb29, v95
	v_add_f16_e32 v116, v66, v70
	v_add_f16_e32 v34, v92, v34
	;; [unrolled: 1-line block ×3, first 2 shown]
	v_mul_f16_e32 v123, 0x3964, v113
	v_add_f16_e32 v78, v93, v78
	v_add_f16_e32 v79, v94, v79
	v_sub_f16_e32 v93, v33, v20
	v_mul_f16_e32 v125, 0x39e9, v116
	v_fmac_f16_e32 v95, 0x3b29, v91
	v_mul_f16_e32 v94, 0xbbb2, v113
	v_fma_f16 v117, v92, 0x39e9, -v123
	v_mul_f16_e64 v128, 0xb461, v116
	v_fmamk_f16 v118, v93, 0x3964, v125
	v_add_f16_e32 v35, v95, v35
	v_fmamk_f16 v95, v92, 0xb461, v94
	v_add_f16_e32 v68, v117, v68
	v_fma_f16 v126, 0x3bb2, v93, v128
	v_sub_f16_e32 v117, v69, v67
	v_add_f16_e32 v77, v118, v77
	v_add_f16_e64 v129, v95, v78
	v_fma_f16 v78, v92, 0xb461, -v94
	v_add_f16_e64 v130, v126, v79
	v_add_f16_e32 v94, v27, v26
	v_mul_f16_e32 v126, 0xbbb2, v117
	v_add_f16_e32 v118, v67, v69
	v_add_f16_e64 v131, v78, v34
	v_fmac_f16_e64 v128, 0xbbb2, v93
	v_sub_f16_e32 v95, v26, v27
	v_fma_f16 v34, v94, 0xb461, -v126
	v_mul_f16_e32 v127, 0xb461, v118
	v_mul_f16_e32 v79, 0x3bf7, v117
	v_mul_f16_e64 v132, 0x2de8, v118
	v_add_f16_e64 v128, v128, v35
	v_add_f16_e32 v78, v34, v68
	v_fmamk_f16 v34, v95, 0xbbb2, v127
	v_fmamk_f16 v35, v94, 0x2de8, v79
	v_fma_f16 v68, 0xbbf7, v95, v132
	v_fma_f16 v133, v94, 0x2de8, -v79
	v_fmac_f16_e64 v132, 0x3bf7, v95
	v_add_f16_e32 v79, v34, v77
	v_add_f16_e64 v34, v35, v129
	v_add_f16_e64 v68, v68, v130
	;; [unrolled: 1-line block ×4, first 2 shown]
	global_wb scope:SCOPE_SE
	s_barrier_signal -1
	s_barrier_wait -1
	global_inv scope:SCOPE_SE
	s_and_saveexec_b32 s1, vcc_lo
	s_cbranch_execz .LBB0_17
; %bb.16:
	v_mul_f16_e64 v128, 0xb836, v82
	v_mul_f16_e64 v131, 0x3b29, v84
	;; [unrolled: 1-line block ×5, first 2 shown]
	v_sub_f16_e64 v97, v97, v128
	v_mul_f16_e64 v128, 0xbbf7, v85
	v_sub_f16_e64 v102, v102, v131
	v_add_f16_e64 v96, v129, v96
	v_mul_f16_e64 v132, 0x2de8, v83
	v_add_f16_e32 v97, v65, v97
	v_sub_f16_e64 v110, v110, v128
	v_mul_f16_e64 v135, 0xb5c8, v89
	v_sub_f16_e64 v119, v119, v134
	v_add_f16_e64 v99, v130, v99
	v_add_f16_e32 v97, v102, v97
	v_add_f16_e32 v96, v24, v96
	v_mul_f16_e64 v133, 0xb8d2, v86
	v_mul_f16_e32 v102, 0xb1e1, v91
	v_sub_f16_e64 v121, v121, v135
	v_add_f16_e32 v97, v110, v97
	v_add_f16_e64 v105, v132, v105
	v_add_f16_e32 v96, v99, v96
	v_mul_f16_e64 v131, 0x3b76, v88
	v_mul_f16_e32 v99, 0x3964, v93
	v_add_f16_e32 v97, v119, v97
	v_sub_f16_e32 v102, v124, v102
	v_add_f16_e64 v115, v133, v115
	v_add_f16_e32 v96, v105, v96
	v_mul_f16_e32 v124, 0xb8d2, v104
	v_add_f16_e32 v97, v121, v97
	v_mul_f16_e64 v136, 0xbbdd, v90
	v_sub_f16_e32 v99, v125, v99
	v_add_f16_e32 v96, v115, v96
	v_fmamk_f16 v119, v82, 0x3a62, v124
	v_add_f16_e32 v97, v102, v97
	v_add_f16_e64 v102, v131, v120
	v_mul_f16_e32 v120, 0xb461, v107
	v_mul_f16_e32 v110, 0x39e9, v92
	;; [unrolled: 1-line block ×3, first 2 shown]
	v_add_f16_e32 v97, v99, v97
	v_add_f16_e32 v96, v102, v96
	v_add_f16_e64 v99, v136, v122
	v_add_f16_e32 v102, v65, v119
	v_fmamk_f16 v119, v84, 0xbbb2, v120
	v_mul_f16_e32 v121, 0x3b76, v111
	v_sub_f16_e32 v115, v127, v115
	v_add_f16_e32 v99, v99, v96
	v_add_f16_e32 v110, v110, v123
	;; [unrolled: 1-line block ×3, first 2 shown]
	v_fmamk_f16 v119, v85, 0x35c8, v121
	v_mul_f16_e32 v122, 0xbacd, v108
	v_mul_f16_e64 v142, 0xba62, v98
	v_mul_f16_e32 v105, 0xb461, v94
	v_add_f16_e32 v96, v115, v97
	v_add_f16_e32 v97, v110, v99
	;; [unrolled: 1-line block ×3, first 2 shown]
	v_fmamk_f16 v102, v87, 0x3836, v122
	v_mul_f16_e32 v125, 0x2de8, v112
	v_fma_f16 v110, 0xb8d2, v80, v142
	v_mul_f16_e64 v143, 0x3bb2, v100
	v_add_f16_e32 v105, v105, v126
	v_add_f16_e32 v99, v102, v99
	v_fmamk_f16 v102, v89, 0xbbf7, v125
	v_mul_f16_e32 v126, 0x39e9, v114
	v_add_f16_e32 v110, v24, v110
	v_fma_f16 v115, 0xb461, v81, v143
	v_mul_f16_e64 v132, 0xb5c8, v101
	v_add_f16_e32 v99, v102, v99
	v_fmamk_f16 v102, v91, 0x3964, v126
	v_mul_f16_e32 v127, 0xbbdd, v116
	v_add_f16_e32 v110, v115, v110
	v_fma_f16 v115, 0x3b76, v83, v132
	v_mul_f16_e64 v133, 0xb836, v103
	v_add_f16_e32 v99, v102, v99
	v_fmamk_f16 v102, v93, 0x31e1, v127
	v_add_f16_e32 v97, v105, v97
	v_add_f16_e32 v105, v115, v110
	v_fma_f16 v110, 0xbacd, v86, v133
	v_mul_f16_e64 v134, 0x3bf7, v106
	v_mul_f16_e64 v154, 0xb461, v104
	v_add_f16_e32 v99, v102, v99
	v_mul_f16_e64 v128, 0x3722, v118
	v_add_f16_e32 v102, v110, v105
	v_fma_f16 v105, 0x2de8, v88, v134
	v_mul_f16_e64 v140, 0xb964, v109
	v_fma_f16 v115, 0x3bb2, v82, v154
	v_mul_f16_e64 v155, 0xbacd, v107
	v_fma_f16 v110, 0xbb29, v95, v128
	v_add_f16_e32 v102, v105, v102
	v_fma_f16 v105, 0x39e9, v90, v140
	v_mul_f16_e64 v141, 0xb1e1, v113
	v_add_f16_e32 v115, v65, v115
	v_fma_f16 v119, 0xb836, v84, v155
	v_mul_f16_e64 v156, 0x39e9, v111
	v_add_f16_e32 v102, v105, v102
	v_fma_f16 v105, 0xbbdd, v92, v141
	v_add_f16_e32 v99, v110, v99
	v_add_f16_e32 v110, v119, v115
	v_fma_f16 v115, 0xb964, v85, v156
	v_mul_f16_e64 v157, 0x3722, v108
	v_mul_f16_e64 v149, 0xbbb2, v98
	v_add_f16_e32 v102, v105, v102
	v_mul_f16_e64 v164, 0xbbdd, v112
	v_add_f16_e32 v105, v115, v110
	v_fma_f16 v110, 0x3b29, v87, v157
	v_fma_f16 v119, 0xb461, v80, v149
	v_mul_f16_e64 v137, 0x3836, v100
	v_mul_f16_e64 v144, 0x3b29, v117
	;; [unrolled: 1-line block ×3, first 2 shown]
	v_add_f16_e32 v105, v110, v105
	v_fma_f16 v110, 0x31e1, v89, v164
	v_add_f16_e32 v119, v24, v119
	v_fma_f16 v123, 0xbacd, v81, v137
	v_mul_f16_e64 v129, 0x3964, v101
	v_fma_f16 v115, 0x3722, v94, v144
	v_add_f16_e32 v105, v110, v105
	v_fma_f16 v110, 0xbbf7, v91, v165
	v_mul_f16_e64 v148, 0x3b76, v116
	v_add_f16_e32 v119, v123, v119
	v_fma_f16 v123, 0x39e9, v83, v129
	v_mul_f16_e64 v130, 0xbb29, v103
	v_add_f16_e32 v105, v110, v105
	v_fma_f16 v110, 0x35c8, v93, v148
	v_add_f16_e32 v102, v115, v102
	v_add_f16_e32 v115, v123, v119
	v_fma_f16 v119, 0x3722, v86, v130
	v_mul_f16_e64 v131, 0xb1e1, v106
	v_mul_f16_e64 v166, 0x2de8, v104
	v_add_f16_e32 v105, v110, v105
	v_mul_f16_e64 v153, 0xb8d2, v118
	v_add_f16_e32 v110, v119, v115
	v_fma_f16 v115, 0xbbdd, v88, v131
	v_mul_f16_e64 v135, 0x3bf7, v109
	v_fma_f16 v123, 0x3bf7, v82, v166
	v_mul_f16_e64 v150, 0xbbdd, v107
	v_add_f16_e32 v25, v25, v24
	v_fma_f16 v119, 0x3a62, v95, v153
	v_add_f16_e32 v110, v115, v110
	v_fma_f16 v115, 0x2de8, v90, v135
	v_mul_f16_e64 v136, 0xb5c8, v113
	v_add_f16_e32 v123, v65, v123
	v_fma_f16 v138, 0x31e1, v84, v150
	v_mul_f16_e64 v151, 0xb461, v111
	v_add_f16_e32 v25, v28, v25
	v_add_f16_e32 v28, v74, v65
	;; [unrolled: 1-line block ×3, first 2 shown]
	v_fma_f16 v115, 0x3b76, v92, v136
	v_add_f16_e32 v105, v119, v105
	v_add_f16_e64 v119, v138, v123
	v_fma_f16 v123, 0xbbb2, v85, v151
	v_mul_f16_e64 v152, 0x3b76, v108
	v_mul_f16_e64 v167, 0xbbf7, v98
	v_add_f16_e32 v25, v29, v25
	v_add_f16_e32 v28, v73, v28
	;; [unrolled: 1-line block ×4, first 2 shown]
	v_fma_f16 v119, 0xb5c8, v87, v152
	v_mul_f16_e64 v168, 0x3722, v112
	v_fma_f16 v139, 0x2de8, v80, v167
	v_mul_f16_e64 v169, 0xb1e1, v100
	v_add_f16_e32 v25, v30, v25
	v_add_f16_e32 v28, v72, v28
	v_mul_f16_e64 v138, 0xba62, v117
	v_add_f16_e32 v115, v119, v115
	v_fma_f16 v119, 0x3b29, v89, v168
	v_mul_f16_e64 v170, 0xbacd, v114
	v_add_f16_e64 v139, v24, v139
	v_fma_f16 v145, 0xbbdd, v81, v169
	v_mul_f16_e64 v171, 0x3bb2, v101
	v_add_f16_e32 v25, v31, v25
	v_add_f16_e32 v28, v71, v28
	v_fma_f16 v123, 0xb8d2, v94, v138
	v_add_f16_e32 v115, v119, v115
	v_fma_f16 v119, 0x3836, v91, v170
	v_mul_f16_e64 v172, 0xb8d2, v116
	v_add_f16_e64 v139, v145, v139
	v_fma_f16 v145, 0xb461, v83, v171
	v_mul_f16_e64 v173, 0x35c8, v103
	v_mul_f16_e32 v30, 0xb5c8, v98
	v_add_f16_e32 v25, v32, v25
	v_add_f16_e32 v28, v76, v28
	;; [unrolled: 1-line block ×3, first 2 shown]
	v_fma_f16 v119, 0xba62, v93, v172
	v_add_f16_e32 v110, v123, v110
	v_add_f16_e64 v123, v145, v139
	v_fma_f16 v139, 0x3b76, v86, v173
	v_mul_f16_e64 v174, 0xbb29, v106
	v_mul_f16_e64 v159, 0x3722, v104
	v_fmamk_f16 v31, v80, 0x3b76, v30
	v_mul_f16_e32 v71, 0xb964, v100
	v_add_f16_e32 v25, v33, v25
	v_add_f16_e32 v28, v75, v28
	;; [unrolled: 1-line block ×3, first 2 shown]
	v_mul_f16_e64 v175, 0x39e9, v118
	v_add_f16_e64 v119, v139, v123
	v_fma_f16 v123, 0x3722, v88, v174
	v_mul_f16_e64 v176, 0xb836, v109
	v_fma_f16 v146, 0x3b29, v82, v159
	v_mul_f16_e64 v145, 0xb8d2, v107
	v_add_f16_e32 v31, v24, v31
	v_fmamk_f16 v32, v81, 0x39e9, v71
	v_mul_f16_e32 v76, 0xbb29, v101
	v_add_f16_e32 v25, v26, v25
	v_add_f16_e32 v26, v70, v28
	v_fma_f16 v139, 0xb964, v95, v175
	v_add_f16_e32 v119, v123, v119
	v_fma_f16 v123, 0xbacd, v90, v176
	v_mul_f16_e64 v177, 0x3a62, v113
	v_add_f16_e64 v147, v65, v146
	v_fma_f16 v158, 0x3a62, v84, v145
	v_mul_f16_e64 v146, 0xbbdd, v111
	v_add_f16_e32 v31, v32, v31
	v_fmamk_f16 v32, v83, 0x3722, v76
	v_mul_f16_e32 v28, 0xbbf7, v103
	v_add_f16_e32 v25, v27, v25
	v_add_f16_e32 v26, v69, v26
	;; [unrolled: 1-line block ×3, first 2 shown]
	v_fma_f16 v123, 0xb8d2, v92, v177
	v_add_f16_e64 v115, v139, v115
	v_add_f16_e64 v139, v158, v147
	v_fma_f16 v158, 0xb1e1, v85, v146
	v_mul_f16_e64 v147, 0xb461, v108
	v_mul_f16_e64 v179, 0xbb29, v98
	v_add_f16_e32 v31, v32, v31
	v_fmamk_f16 v27, v86, 0x2de8, v28
	v_mul_f16_e32 v32, 0xbbb2, v106
	v_add_f16_e32 v20, v20, v25
	v_add_f16_e32 v25, v67, v26
	;; [unrolled: 1-line block ×3, first 2 shown]
	v_add_f16_e64 v123, v158, v139
	v_fma_f16 v139, 0xbbb2, v87, v147
	v_mul_f16_e64 v160, 0x39e9, v112
	v_fma_f16 v162, 0x3722, v80, v179
	v_mul_f16_e64 v180, 0xba62, v100
	v_add_f16_e32 v26, v27, v31
	v_fmamk_f16 v27, v88, 0xb461, v32
	v_mul_f16_e32 v31, 0xba62, v109
	v_add_f16_e32 v20, v21, v20
	v_add_f16_e32 v21, v66, v25
	v_mul_f16_e64 v178, 0x3964, v117
	v_add_f16_e64 v123, v139, v123
	v_fma_f16 v139, 0xb964, v89, v160
	v_mul_f16_e64 v161, 0x3b76, v114
	v_add_f16_e64 v163, v24, v162
	v_fma_f16 v181, 0xb8d2, v81, v180
	v_mul_f16_e64 v182, 0x31e1, v101
	v_add_f16_e32 v26, v27, v26
	v_fmamk_f16 v27, v90, 0xb8d2, v31
	v_add_f16_e32 v18, v18, v20
	v_add_f16_e32 v20, v46, v21
	v_mul_f16_e32 v21, 0xb836, v113
	v_fma_f16 v158, 0x39e9, v94, v178
	v_add_f16_e64 v123, v139, v123
	v_fma_f16 v139, 0x35c8, v91, v161
	v_mul_f16_e64 v162, 0x2de8, v116
	v_add_f16_e64 v163, v181, v163
	v_fma_f16 v181, 0xbbdd, v83, v182
	v_mul_f16_e64 v183, 0x3bb2, v103
	v_add_f16_e32 v26, v27, v26
	v_add_f16_e32 v18, v19, v18
	v_add_f16_e32 v19, v45, v20
	v_fmamk_f16 v20, v92, 0xbacd, v21
	v_mul_f16_e32 v27, 0xb1e1, v117
	v_add_f16_e64 v123, v139, v123
	v_fma_f16 v139, 0x3bf7, v93, v162
	v_add_f16_e64 v119, v158, v119
	v_add_f16_e64 v158, v181, v163
	v_fma_f16 v181, 0xb461, v86, v183
	v_mul_f16_e64 v184, 0x3964, v106
	v_mul_f16_e64 v185, 0x39e9, v104
	v_add_f16_e32 v16, v16, v18
	v_add_f16_e32 v18, v44, v19
	;; [unrolled: 1-line block ×3, first 2 shown]
	v_fmamk_f16 v20, v94, 0xbbdd, v27
	v_add_f16_e64 v123, v139, v123
	v_mul_f16_e64 v163, 0xbacd, v118
	v_add_f16_e64 v139, v181, v158
	v_fma_f16 v158, 0x39e9, v88, v184
	v_mul_f16_e64 v181, 0xb5c8, v109
	v_fma_f16 v187, 0x3964, v82, v185
	v_mul_f16_e64 v188, 0x2de8, v107
	v_add_f16_e32 v16, v17, v16
	v_add_f16_e32 v17, v43, v18
	v_add_f16_e32 v18, v20, v19
	v_fma_f16 v19, v80, 0xb8d2, -v142
	v_fma_f16 v186, 0x3836, v95, v163
	v_add_f16_e64 v139, v158, v139
	v_fma_f16 v158, 0x3b76, v90, v181
	v_mul_f16_e64 v189, 0xbbf7, v113
	v_add_f16_e64 v187, v65, v187
	v_fma_f16 v190, 0x3bf7, v84, v188
	v_mul_f16_e64 v191, 0xb8d2, v111
	v_add_f16_e32 v19, v24, v19
	v_fma_f16 v26, v81, 0xb461, -v143
	v_fmac_f16_e64 v154, 0xbbb2, v82
	v_add_f16_e64 v139, v158, v139
	v_fma_f16 v158, 0x2de8, v92, v189
	v_add_f16_e64 v123, v186, v123
	v_add_f16_e64 v186, v190, v187
	v_fma_f16 v187, 0x3a62, v85, v191
	v_mul_f16_e64 v190, 0xbbdd, v108
	v_add_f16_e32 v16, v40, v16
	v_add_f16_e32 v19, v26, v19
	v_fma_f16 v26, v83, 0x3b76, -v132
	v_add_f16_e64 v40, v65, v154
	v_fmac_f16_e64 v155, 0x3836, v84
	v_add_f16_e64 v139, v158, v139
	v_add_f16_e64 v158, v187, v186
	v_fma_f16 v186, 0x31e1, v87, v190
	v_mul_f16_e64 v187, 0xbacd, v112
	v_add_f16_e32 v19, v26, v19
	v_fma_f16 v26, v86, 0xbacd, -v133
	v_add_f16_e64 v40, v155, v40
	v_fmac_f16_e64 v156, 0x3964, v85
	v_add_f16_e64 v158, v186, v158
	v_fma_f16 v186, 0xb836, v89, v187
	v_mul_f16_e64 v197, 0xb461, v114
	v_add_f16_e32 v19, v26, v19
	v_fma_f16 v26, v88, 0x2de8, -v134
	v_add_f16_e64 v40, v156, v40
	v_fmac_f16_e64 v157, 0xbb29, v87
	;; [unrolled: 7-line block ×3, first 2 shown]
	v_add_f16_e64 v158, v186, v158
	v_fma_f16 v186, 0xbb29, v93, v200
	v_mul_f16_e32 v104, 0x3b76, v104
	v_add_f16_e32 v17, v42, v17
	v_add_f16_e32 v19, v26, v19
	v_fma_f16 v26, v92, 0xbbdd, -v141
	v_add_f16_e64 v40, v164, v40
	v_fmac_f16_e64 v165, 0x3bf7, v91
	v_add_f16_e64 v186, v186, v158
	v_mul_f16_e64 v158, 0x3b76, v118
	v_fma_f16 v204, 0x35c8, v82, v104
	v_mul_f16_e32 v107, 0x39e9, v107
	v_add_f16_e32 v17, v41, v17
	v_add_f16_e32 v19, v26, v19
	v_fma_f16 v26, v94, 0x3722, -v144
	v_add_f16_e64 v40, v165, v40
	v_fmac_f16_e64 v148, 0xb5c8, v93
	v_fma_f16 v41, v80, 0xb461, -v149
	v_fmac_f16_e64 v166, 0xbbf7, v82
	v_fma_f16 v203, 0xb5c8, v95, v158
	v_add_f16_e64 v204, v65, v204
	v_fma_f16 v206, 0x3964, v84, v107
	v_mul_f16_e32 v111, 0x3722, v111
	v_add_f16_e32 v19, v26, v19
	v_add_f16_e64 v26, v148, v40
	v_add_f16_e32 v40, v24, v41
	v_fma_f16 v41, v81, 0xbacd, -v137
	v_add_f16_e64 v42, v65, v166
	v_fmac_f16_e64 v150, 0xb1e1, v84
	v_add_f16_e64 v186, v203, v186
	v_add_f16_e64 v203, v206, v204
	v_fma_f16 v204, 0x3b29, v85, v111
	v_mul_f16_e32 v108, 0x2de8, v108
	v_fma_f16 v43, v80, 0x2de8, -v167
	v_add_f16_e32 v40, v41, v40
	v_fma_f16 v41, v83, 0x39e9, -v129
	v_add_f16_e64 v42, v150, v42
	v_fmac_f16_e64 v151, 0x3bb2, v85
	v_add_f16_e64 v203, v204, v203
	v_fmamk_f16 v74, v87, 0x3bf7, v108
	v_mul_f16_e32 v112, 0xb461, v112
	v_add_f16_e32 v43, v24, v43
	v_fma_f16 v44, v81, 0xbbdd, -v169
	v_add_f16_e32 v40, v41, v40
	v_fma_f16 v41, v86, 0x3722, -v130
	v_add_f16_e64 v42, v151, v42
	v_fmac_f16_e64 v152, 0x35c8, v87
	v_add_f16_e64 v29, v74, v203
	v_fmamk_f16 v73, v89, 0x3bb2, v112
	v_mul_f16_e32 v72, 0xb8d2, v114
	v_add_f16_e32 v43, v44, v43
	v_fma_f16 v44, v83, 0xb461, -v171
	v_add_f16_e32 v40, v41, v40
	v_fma_f16 v41, v88, 0xbbdd, -v131
	v_add_f16_e64 v42, v152, v42
	v_fmac_f16_e64 v168, 0xbb29, v89
	v_add_f16_e32 v29, v73, v29
	v_fmamk_f16 v73, v91, 0x3a62, v72
	v_mul_f16_e32 v33, 0xbacd, v116
	v_add_f16_e32 v43, v44, v43
	v_fma_f16 v44, v86, 0x3b76, -v173
	v_add_f16_e32 v40, v41, v40
	v_fma_f16 v41, v90, 0x2de8, -v135
	v_add_f16_e64 v42, v168, v42
	v_fmac_f16_e64 v170, 0xb836, v91
	v_add_f16_e32 v29, v73, v29
	v_fmamk_f16 v69, v93, 0x3836, v33
	v_add_f16_e32 v43, v44, v43
	v_fma_f16 v44, v88, 0x3722, -v174
	v_add_f16_e32 v40, v41, v40
	v_fma_f16 v41, v92, 0x3b76, -v136
	v_add_f16_e64 v42, v170, v42
	v_fmac_f16_e64 v172, 0x3a62, v93
	v_add_f16_e32 v25, v69, v29
	v_mul_f16_e32 v29, 0xbbdd, v118
	v_add_f16_e32 v43, v44, v43
	v_fma_f16 v44, v90, 0xbacd, -v176
	v_add_f16_e32 v40, v41, v40
	v_fma_f16 v41, v94, 0xb8d2, -v138
	v_add_f16_e64 v42, v172, v42
	v_fmac_f16_e64 v175, 0x3964, v95
	v_fmamk_f16 v45, v95, 0x31e1, v29
	v_add_f16_e32 v43, v44, v43
	v_fma_f16 v44, v92, 0xb8d2, -v177
	v_add_f16_e32 v40, v41, v40
	v_fmac_f16_e64 v159, 0xbb29, v82
	v_add_f16_e64 v41, v175, v42
	v_fma_f16 v42, v80, 0x3722, -v179
	v_add_f16_e32 v25, v45, v25
	v_add_f16_e32 v43, v44, v43
	v_fma_f16 v44, v94, 0x39e9, -v178
	v_add_f16_e64 v45, v65, v159
	v_fmac_f16_e64 v145, 0xba62, v84
	v_add_f16_e32 v42, v24, v42
	v_fma_f16 v46, v81, 0xb8d2, -v180
	v_fmac_f16_e64 v185, 0xb964, v82
	v_add_f16_e32 v43, v44, v43
	v_add_f16_e64 v44, v145, v45
	v_fma_f16 v45, v83, 0xbbdd, -v182
	v_add_f16_e32 v42, v46, v42
	v_add_f16_e64 v46, v65, v185
	v_fmac_f16_e64 v188, 0xbbf7, v84
	v_fmac_f16_e64 v191, 0xba62, v85
	;; [unrolled: 1-line block ×3, first 2 shown]
	v_add_f16_e32 v42, v45, v42
	v_fma_f16 v45, v86, 0xb461, -v183
	v_add_f16_e64 v46, v188, v46
	v_mul_f16_e64 v193, 0xb964, v98
	v_fmac_f16_e64 v187, 0x3836, v89
	v_mul_f16_e64 v196, 0xbbf7, v100
	v_add_f16_e32 v42, v45, v42
	v_fma_f16 v45, v88, 0x39e9, -v184
	v_add_f16_e64 v46, v191, v46
	v_fma_f16 v195, 0x39e9, v80, v193
	v_mul_f16_e64 v192, 0xb836, v117
	v_fmac_f16_e64 v197, 0x3bb2, v91
	v_add_f16_e32 v42, v45, v42
	v_fma_f16 v45, v90, 0x3b76, -v181
	v_add_f16_e64 v46, v190, v46
	v_add_f16_e64 v195, v24, v195
	v_fma_f16 v198, 0x2de8, v81, v196
	v_mul_f16_e64 v199, 0xba62, v101
	v_add_f16_e32 v42, v45, v42
	v_fma_f16 v45, v92, 0x2de8, -v189
	v_add_f16_e64 v46, v187, v46
	v_fmac_f16_e32 v124, 0xba62, v82
	v_fmac_f16_e64 v200, 0x3b29, v93
	v_fma_f16 v66, v80, 0x39e9, -v193
	v_add_f16_e32 v42, v45, v42
	v_fma_f16 v45, v94, 0xbacd, -v192
	v_add_f16_e64 v46, v197, v46
	v_fmac_f16_e32 v104, 0xb5c8, v82
	v_fma_f16 v194, 0xbacd, v94, v192
	v_add_f16_e64 v195, v198, v195
	v_fma_f16 v198, 0xb8d2, v83, v199
	v_mul_f16_e64 v201, 0xb1e1, v103
	v_fma_f16 v30, v80, 0x3b76, -v30
	v_add_f16_e32 v20, v65, v124
	v_add_f16_e32 v42, v45, v42
	v_add_f16_e64 v45, v200, v46
	v_add_f16_e32 v46, v24, v66
	v_fma_f16 v66, v81, 0x2de8, -v196
	v_add_f16_e32 v65, v65, v104
	v_fmac_f16_e32 v107, 0xb964, v84
	v_add_f16_e64 v139, v194, v139
	v_add_f16_e64 v194, v198, v195
	v_fma_f16 v195, 0xbbdd, v86, v201
	v_mul_f16_e64 v198, 0x3836, v106
	v_fmac_f16_e32 v120, 0x3bb2, v84
	v_add_f16_e32 v24, v24, v30
	v_fma_f16 v30, v81, 0x39e9, -v71
	v_add_f16_e32 v46, v66, v46
	v_fma_f16 v66, v83, 0xb8d2, -v199
	v_add_f16_e32 v65, v107, v65
	v_fmac_f16_e32 v111, 0xbb29, v85
	v_add_f16_e64 v194, v195, v194
	v_fma_f16 v195, 0xbacd, v88, v198
	v_mul_f16_e64 v202, 0x3bb2, v109
	v_add_f16_e32 v20, v120, v20
	v_fmac_f16_e32 v121, 0xb5c8, v85
	v_fmac_f16_e64 v146, 0x31e1, v85
	v_add_f16_e32 v24, v30, v24
	v_fma_f16 v30, v83, 0x3722, -v76
	v_add_f16_e32 v46, v66, v46
	v_fma_f16 v66, v86, 0xbbdd, -v201
	v_add_f16_e32 v65, v111, v65
	v_fmac_f16_e32 v108, 0xbbf7, v87
	v_add_f16_e64 v194, v195, v194
	v_fma_f16 v195, 0xb461, v90, v202
	v_mul_f16_e64 v205, 0x3b29, v113
	v_add_f16_e32 v20, v121, v20
	v_fmac_f16_e32 v122, 0xb836, v87
	v_add_f16_e64 v44, v146, v44
	v_fmac_f16_e64 v147, 0x3bb2, v87
	v_add_f16_e32 v24, v30, v24
	v_fma_f16 v28, v86, 0x2de8, -v28
	v_add_f16_e32 v46, v66, v46
	v_fma_f16 v66, v88, 0xbacd, -v198
	v_add_f16_e32 v65, v108, v65
	v_fmac_f16_e32 v112, 0xbbb2, v89
	v_add_f16_e64 v194, v195, v194
	v_fma_f16 v195, 0x3722, v92, v205
	v_add_f16_e32 v20, v122, v20
	v_fmac_f16_e32 v125, 0x3bf7, v89
	v_add_f16_e64 v44, v147, v44
	v_fmac_f16_e64 v160, 0x3964, v89
	v_add_f16_e32 v24, v28, v24
	v_fma_f16 v28, v88, 0xb461, -v32
	v_add_f16_e32 v30, v66, v46
	v_fma_f16 v46, v90, 0xb461, -v202
	v_add_f16_e32 v65, v112, v65
	v_fmac_f16_e32 v72, 0xba62, v91
	v_add_f16_e64 v194, v195, v194
	v_mul_f16_e64 v195, 0x35c8, v117
	v_add_f16_e32 v20, v125, v20
	v_fmac_f16_e32 v126, 0xb964, v91
	v_add_f16_e64 v44, v160, v44
	v_fmac_f16_e64 v161, 0xb5c8, v91
	v_add_f16_e32 v24, v28, v24
	v_fma_f16 v28, v90, 0xb8d2, -v31
	v_add_f16_e32 v30, v46, v30
	v_fma_f16 v32, v92, 0x3722, -v205
	v_add_f16_e32 v46, v72, v65
	v_fmac_f16_e32 v33, 0xb836, v93
	v_fma_f16 v204, 0x3b76, v94, v195
	v_add_f16_e32 v20, v126, v20
	v_fmac_f16_e32 v127, 0xb1e1, v93
	v_add_f16_e64 v44, v161, v44
	v_fmac_f16_e64 v162, 0xbbf7, v93
	v_add_f16_e32 v24, v28, v24
	v_fma_f16 v21, v92, 0xbacd, -v21
	v_add_f16_e32 v30, v32, v30
	v_add_f16_e32 v32, v33, v46
	v_and_b32_e32 v33, 0xffff, v39
	v_add_f16_e64 v74, v204, v194
	v_add_f16_e32 v20, v127, v20
	v_fmac_f16_e64 v128, 0x3b29, v95
	v_fmac_f16_e64 v153, 0xba62, v95
	v_fma_f16 v31, v94, 0x3b76, -v195
	v_fmac_f16_e32 v29, 0xb1e1, v95
	v_add_f16_e64 v44, v162, v44
	v_fmac_f16_e64 v163, 0xb836, v95
	v_fmac_f16_e64 v158, 0x35c8, v95
	v_add_f16_e32 v21, v21, v24
	v_fma_f16 v24, v94, 0xbbdd, -v27
	v_lshlrev_b32_e32 v27, 2, v33
	v_pack_b32_f16 v18, v18, v25
	v_pack_b32_f16 v16, v16, v17
	v_add_f16_e64 v20, v128, v20
	v_pack_b32_f16 v17, v139, v123
	v_pack_b32_f16 v25, v74, v186
	v_add_f16_e64 v26, v153, v26
	v_add_f16_e32 v30, v31, v30
	v_add_f16_e32 v29, v29, v32
	v_pack_b32_f16 v31, v110, v105
	v_pack_b32_f16 v32, v119, v115
	v_add_f16_e64 v44, v163, v44
	v_add_f16_e64 v28, v158, v45
	v_pack_b32_f16 v33, v97, v96
	v_pack_b32_f16 v39, v102, v99
	v_add_f16_e32 v21, v24, v21
	ds_store_2addr_b32 v27, v16, v18 offset1:1
	ds_store_2addr_b32 v27, v25, v17 offset0:2 offset1:3
	ds_store_2addr_b32 v27, v32, v31 offset0:4 offset1:5
	ds_store_2addr_b32 v27, v39, v33 offset0:6 offset1:7
	v_perm_b32 v16, v77, v35, 0x5040100
	v_perm_b32 v17, v68, v34, 0x5040100
	v_pack_b32_f16 v18, v19, v20
	v_perm_b32 v19, v79, v78, 0x5040100
	v_pack_b32_f16 v20, v43, v41
	v_pack_b32_f16 v24, v40, v26
	;; [unrolled: 1-line block ×5, first 2 shown]
	ds_store_2addr_b32 v27, v17, v16 offset0:8 offset1:9
	ds_store_2addr_b32 v27, v19, v18 offset0:10 offset1:11
	;; [unrolled: 1-line block ×4, first 2 shown]
	ds_store_b32 v27, v21 offset:64
.LBB0_17:
	s_wait_alu 0xfffe
	s_or_b32 exec_lo, exec_lo, s1
	global_wb scope:SCOPE_SE
	s_wait_dscnt 0x0
	s_barrier_signal -1
	s_barrier_wait -1
	global_inv scope:SCOPE_SE
	ds_load_2addr_b32 v[16:17], v37 offset1:187
	v_add_nc_u32_e32 v18, 0x500, v37
	v_add_nc_u32_e32 v20, 0xb00, v37
	;; [unrolled: 1-line block ×3, first 2 shown]
	ds_load_2addr_b32 v[18:19], v18 offset0:54 offset1:241
	ds_load_2addr_b32 v[20:21], v20 offset0:44 offset1:231
	;; [unrolled: 1-line block ×3, first 2 shown]
	global_wb scope:SCOPE_SE
	s_wait_dscnt 0x0
	s_barrier_signal -1
	s_barrier_wait -1
	global_inv scope:SCOPE_SE
	v_lshrrev_b32_e32 v27, 16, v17
	v_mul_f16_e32 v28, v62, v17
	v_lshrrev_b32_e32 v26, 16, v16
	v_lshrrev_b32_e32 v29, 16, v18
	;; [unrolled: 1-line block ×3, first 2 shown]
	v_mul_f16_e32 v40, v62, v27
	v_fma_f16 v27, v0, v27, -v28
	v_mul_f16_e32 v28, v59, v18
	v_lshrrev_b32_e32 v31, 16, v20
	v_lshrrev_b32_e32 v32, 16, v21
	;; [unrolled: 1-line block ×3, first 2 shown]
	v_mul_f16_e32 v41, v57, v19
	v_fmac_f16_e32 v40, v0, v17
	v_fma_f16 v17, v1, v29, -v28
	v_mul_f16_e32 v28, v57, v30
	v_lshrrev_b32_e32 v39, 16, v25
	v_mul_f16_e32 v42, v58, v20
	v_mul_f16_e32 v43, v56, v21
	;; [unrolled: 1-line block ×4, first 2 shown]
	v_fma_f16 v30, v2, v30, -v41
	v_mul_f16_e32 v41, v56, v32
	v_fmac_f16_e32 v28, v2, v19
	v_mul_f16_e32 v2, v55, v33
	v_fmac_f16_e32 v0, v1, v18
	v_fmac_f16_e32 v29, v3, v20
	v_fma_f16 v1, v3, v31, -v42
	v_fmac_f16_e32 v41, v12, v21
	v_fma_f16 v3, v12, v32, -v43
	v_mul_f16_e32 v12, v55, v24
	v_mul_f16_e32 v18, v53, v39
	;; [unrolled: 1-line block ×3, first 2 shown]
	v_fmac_f16_e32 v2, v13, v24
	v_sub_f16_e32 v20, v16, v29
	v_fma_f16 v12, v13, v33, -v12
	v_fmac_f16_e32 v18, v14, v25
	v_fma_f16 v13, v14, v39, -v19
	v_sub_f16_e32 v2, v0, v2
	v_sub_f16_e32 v1, v26, v1
	v_fma_f16 v14, v16, 2.0, -v20
	v_sub_f16_e32 v12, v17, v12
	v_sub_f16_e32 v16, v40, v41
	;; [unrolled: 1-line block ×3, first 2 shown]
	v_fma_f16 v0, v0, 2.0, -v2
	v_sub_f16_e32 v18, v28, v18
	v_sub_f16_e32 v13, v30, v13
	v_fma_f16 v19, v26, 2.0, -v1
	v_fma_f16 v17, v17, 2.0, -v12
	;; [unrolled: 1-line block ×3, first 2 shown]
	v_sub_f16_e32 v25, v14, v0
	v_fma_f16 v0, v28, 2.0, -v18
	v_add_f16_e32 v28, v20, v12
	v_fma_f16 v12, v30, 2.0, -v13
	v_sub_f16_e32 v29, v1, v2
	v_add_f16_e32 v30, v16, v13
	v_fma_f16 v21, v40, 2.0, -v16
	v_sub_f16_e32 v18, v3, v18
	v_sub_f16_e32 v17, v19, v17
	v_fma_f16 v20, v20, 2.0, -v28
	v_sub_f16_e32 v12, v24, v12
	v_fma_f16 v31, v1, 2.0, -v29
	v_fma_f16 v1, v16, 2.0, -v30
	v_sub_f16_e32 v27, v21, v0
	v_fma_f16 v16, v3, 2.0, -v18
	v_fma_f16 v26, v19, 2.0, -v17
	;; [unrolled: 1-line block ×3, first 2 shown]
	v_fmamk_f16 v3, v1, 0xb9a8, v20
	v_fma_f16 v14, v14, 2.0, -v25
	v_fma_f16 v0, v21, 2.0, -v27
	v_fmamk_f16 v19, v16, 0xb9a8, v31
	v_sub_f16_e32 v21, v26, v13
	v_fmac_f16_e32 v3, 0x39a8, v16
	v_fmamk_f16 v13, v30, 0x39a8, v28
	v_fmamk_f16 v24, v18, 0x39a8, v29
	v_sub_f16_e32 v2, v14, v0
	v_fmac_f16_e32 v19, 0xb9a8, v1
	v_fma_f16 v1, v20, 2.0, -v3
	v_add_f16_e32 v12, v25, v12
	v_sub_f16_e32 v20, v17, v27
	v_fmac_f16_e32 v13, 0x39a8, v18
	v_fmac_f16_e32 v24, 0xb9a8, v30
	v_fma_f16 v0, v14, 2.0, -v2
	v_fma_f16 v14, v26, 2.0, -v21
	;; [unrolled: 1-line block ×7, first 2 shown]
	v_pack_b32_f16 v18, v0, v14
	v_pack_b32_f16 v28, v1, v27
	v_pack_b32_f16 v29, v16, v26
	v_pack_b32_f16 v31, v2, v21
	v_pack_b32_f16 v30, v17, v25
	v_pack_b32_f16 v32, v3, v19
	v_pack_b32_f16 v33, v12, v20
	v_pack_b32_f16 v39, v13, v24
	ds_store_2addr_b32 v47, v18, v28 offset1:17
	ds_store_2addr_b32 v47, v29, v30 offset0:34 offset1:51
	ds_store_2addr_b32 v47, v31, v32 offset0:68 offset1:85
	ds_store_2addr_b32 v47, v33, v39 offset0:102 offset1:119
	global_wb scope:SCOPE_SE
	s_wait_dscnt 0x0
	s_barrier_signal -1
	s_barrier_wait -1
	global_inv scope:SCOPE_SE
	s_and_saveexec_b32 s1, s0
	s_cbranch_execz .LBB0_19
; %bb.18:
	v_add_nc_u32_e32 v2, 0x400, v37
	v_add_nc_u32_e32 v3, 0x800, v37
	;; [unrolled: 1-line block ×4, first 2 shown]
	ds_load_2addr_b32 v[0:1], v37 offset1:136
	ds_load_2addr_b32 v[16:17], v2 offset0:16 offset1:152
	ds_load_2addr_b32 v[2:3], v3 offset0:32 offset1:168
	;; [unrolled: 1-line block ×4, first 2 shown]
	ds_load_b32 v78, v37 offset:5440
	s_wait_dscnt 0x3
	v_lshrrev_b32_e32 v21, 16, v2
	v_lshrrev_b32_e32 v14, 16, v0
	;; [unrolled: 1-line block ×6, first 2 shown]
	s_wait_dscnt 0x2
	v_lshrrev_b32_e32 v20, 16, v12
	v_lshrrev_b32_e32 v24, 16, v13
	s_wait_dscnt 0x1
	v_lshrrev_b32_e32 v68, 16, v34
	v_lshrrev_b32_e32 v77, 16, v35
	s_wait_dscnt 0x0
	v_lshrrev_b32_e32 v79, 16, v78
.LBB0_19:
	s_wait_alu 0xfffe
	s_or_b32 exec_lo, exec_lo, s1
	s_and_saveexec_b32 s1, s0
	s_cbranch_execz .LBB0_21
; %bb.20:
	v_mul_f16_e32 v28, v63, v27
	v_mul_f16_e32 v18, v64, v79
	;; [unrolled: 1-line block ×5, first 2 shown]
	v_fmac_f16_e32 v28, v8, v1
	v_fmac_f16_e32 v18, v23, v78
	v_mul_f16_e32 v32, v61, v77
	v_fma_f16 v23, v23, v79, -v29
	v_fma_f16 v27, v8, v27, -v30
	v_fmac_f16_e32 v31, v9, v16
	v_sub_f16_e32 v8, v28, v18
	v_fmac_f16_e32 v32, v22, v35
	v_mul_f16_e32 v29, v61, v35
	v_mul_f16_e32 v16, v60, v16
	;; [unrolled: 1-line block ×5, first 2 shown]
	v_add_f16_e32 v33, v23, v27
	v_sub_f16_e32 v1, v31, v32
	v_fma_f16 v22, v22, v77, -v29
	v_fma_f16 v9, v9, v26, -v16
	v_fmac_f16_e32 v35, v10, v17
	v_fmac_f16_e32 v39, v7, v34
	v_mul_f16_e32 v34, v54, v34
	v_mul_f16_e32 v17, v52, v17
	v_mul_f16_e32 v41, v50, v21
	v_mul_f16_e32 v42, v51, v24
	v_fmamk_f16 v16, v33, 0xb08e, v30
	v_mul_f16_e32 v26, 0x3482, v1
	v_add_f16_e32 v29, v22, v9
	v_sub_f16_e32 v43, v35, v39
	v_fma_f16 v7, v7, v68, -v34
	v_fma_f16 v10, v10, v25, -v17
	v_fmac_f16_e32 v41, v11, v2
	v_fmac_f16_e32 v42, v6, v13
	v_mul_f16_e32 v13, v51, v13
	v_mul_f16_e32 v2, v50, v2
	v_add_f16_e32 v16, v14, v16
	v_fmamk_f16 v40, v29, 0xbbad, v26
	v_mul_f16_e32 v17, 0x3b47, v43
	v_add_f16_e32 v25, v7, v10
	v_sub_f16_e32 v34, v41, v42
	v_fma_f16 v6, v6, v24, -v13
	v_fma_f16 v2, v11, v21, -v2
	v_add_f16_e32 v11, v40, v16
	v_fmamk_f16 v13, v25, 0x36a6, v17
	v_mul_f16_e32 v16, 0xb853, v34
	v_mul_f16_e32 v24, v48, v19
	v_add_f16_e32 v21, v6, v2
	v_mul_f16_e32 v40, v49, v20
	v_add_f16_e32 v11, v13, v11
	v_add_f16_e32 v44, v18, v28
	v_fmac_f16_e32 v24, v4, v3
	v_fmamk_f16 v13, v21, 0x3abb, v16
	v_fmac_f16_e32 v40, v5, v12
	v_mul_f16_e32 v12, v49, v12
	v_mul_f16_e32 v3, v48, v3
	v_sub_f16_e32 v47, v9, v22
	v_add_f16_e32 v11, v13, v11
	v_sub_f16_e32 v13, v27, v23
	v_sub_f16_e32 v46, v24, v40
	v_fma_f16 v5, v5, v20, -v12
	v_fma_f16 v3, v4, v19, -v3
	v_add_f16_e32 v12, v32, v31
	v_mul_f16_e32 v45, 0xbbeb, v13
	v_mul_f16_e32 v19, 0x3482, v47
	;; [unrolled: 1-line block ×3, first 2 shown]
	v_sub_f16_e32 v48, v10, v7
	v_add_f16_e32 v49, v5, v3
	v_fma_f16 v4, v44, 0xb08e, -v45
	v_fma_f16 v50, v12, 0xbbad, -v19
	v_add_f16_e32 v51, v39, v35
	v_mul_f16_e32 v52, 0x3b47, v48
	v_fmamk_f16 v53, v49, 0xb93d, v20
	v_add_f16_e32 v4, v0, v4
	v_add_f16_e32 v55, v42, v41
	v_mul_f16_e32 v58, 0x3beb, v1
	v_fma_f16 v54, v51, 0x36a6, -v52
	v_add_f16_e32 v11, v53, v11
	v_add_f16_e32 v4, v50, v4
	v_sub_f16_e32 v50, v2, v6
	v_mul_f16_e32 v53, 0xba0c, v8
	v_fma_f16 v30, v33, 0xb08e, -v30
	v_add_f16_e32 v60, v40, v24
	v_add_f16_e32 v4, v54, v4
	v_mul_f16_e32 v56, 0xb853, v50
	v_sub_f16_e32 v54, v3, v5
	v_fmamk_f16 v57, v33, 0xb93d, v53
	v_fma_f16 v53, v33, 0xb93d, -v53
	v_fmamk_f16 v62, v29, 0xb08e, v58
	v_fma_f16 v59, v55, 0x3abb, -v56
	v_mul_f16_e32 v61, 0xba0c, v54
	v_add_f16_e32 v57, v14, v57
	v_mul_f16_e32 v63, 0xb853, v43
	v_add_f16_e32 v53, v14, v53
	v_fma_f16 v58, v29, 0xb08e, -v58
	v_add_f16_e32 v30, v14, v30
	v_fma_f16 v26, v29, 0xbbad, -v26
	;; [unrolled: 2-line block ×3, first 2 shown]
	v_mul_f16_e32 v64, 0xba0c, v13
	v_add_f16_e32 v57, v62, v57
	v_fmamk_f16 v62, v25, 0x3abb, v63
	v_mul_f16_e32 v65, 0xb482, v34
	v_add_f16_e32 v53, v58, v53
	v_fma_f16 v58, v25, 0x3abb, -v63
	v_fmac_f16_e32 v45, 0xb08e, v44
	v_add_f16_e32 v26, v26, v30
	v_fma_f16 v17, v25, 0x36a6, -v17
	v_add_f16_e32 v4, v59, v4
	v_fma_f16 v59, v44, 0xb93d, -v64
	v_mul_f16_e32 v66, 0x3beb, v47
	v_add_f16_e32 v57, v62, v57
	v_fmamk_f16 v62, v21, 0xbbad, v65
	v_mul_f16_e32 v67, 0x3b47, v46
	v_fmac_f16_e32 v64, 0xb93d, v44
	v_add_f16_e32 v53, v58, v53
	v_fma_f16 v58, v21, 0xbbad, -v65
	v_add_f16_e32 v45, v0, v45
	v_fmac_f16_e32 v19, 0xbbad, v12
	v_add_f16_e32 v17, v17, v26
	v_fma_f16 v16, v21, 0x3abb, -v16
	v_mul_f16_e32 v26, 0x36a6, v33
	v_add_f16_e32 v59, v0, v59
	v_fma_f16 v68, v12, 0xb08e, -v66
	v_mul_f16_e32 v69, 0xb853, v48
	v_add_f16_e32 v57, v62, v57
	v_fmamk_f16 v62, v49, 0x36a6, v67
	v_mul_f16_e32 v70, 0xb482, v8
	v_add_f16_e32 v64, v0, v64
	v_fmac_f16_e32 v66, 0xb08e, v12
	v_add_f16_e32 v53, v58, v53
	v_fma_f16 v58, v49, 0x36a6, -v67
	v_add_f16_e32 v19, v19, v45
	v_fmac_f16_e32 v52, 0x36a6, v51
	v_add_f16_e32 v16, v16, v17
	v_fmamk_f16 v17, v8, 0x3b47, v26
	v_mul_f16_e32 v45, 0xb93d, v29
	v_add_f16_e32 v59, v68, v59
	v_fma_f16 v68, v51, 0x3abb, -v69
	v_mul_f16_e32 v71, 0xb482, v50
	v_add_f16_e32 v57, v62, v57
	v_fmamk_f16 v62, v33, 0xbbad, v70
	v_mul_f16_e32 v72, 0x3853, v1
	v_fma_f16 v70, v33, 0xbbad, -v70
	v_add_f16_e32 v64, v66, v64
	v_fmac_f16_e32 v69, 0x3abb, v51
	v_add_f16_e32 v53, v58, v53
	v_fma_f16 v20, v49, 0xb93d, -v20
	v_add_f16_e32 v19, v52, v19
	v_fmac_f16_e32 v56, 0x3abb, v55
	v_add_f16_e32 v17, v14, v17
	v_fmamk_f16 v52, v1, 0x3a0c, v45
	v_mul_f16_e32 v58, 0xbbad, v25
	v_add_f16_e32 v59, v68, v59
	v_fma_f16 v68, v55, 0xbbad, -v71
	v_fmamk_f16 v74, v29, 0x3abb, v72
	v_mul_f16_e32 v75, 0xba0c, v43
	v_add_f16_e32 v70, v14, v70
	v_fma_f16 v72, v29, 0x3abb, -v72
	v_add_f16_e32 v64, v69, v64
	v_fmac_f16_e32 v71, 0xbbad, v55
	v_add_f16_e32 v16, v20, v16
	v_add_f16_e32 v19, v56, v19
	v_mul_f16_e32 v20, 0xbb47, v13
	v_add_f16_e32 v17, v52, v17
	v_fmamk_f16 v52, v43, 0xb482, v58
	v_mul_f16_e32 v56, 0xb08e, v21
	v_mul_f16_e32 v77, 0x3b47, v34
	v_add_f16_e32 v70, v72, v70
	v_fma_f16 v72, v25, 0xb93d, -v75
	v_add_f16_e32 v30, v71, v64
	v_fmac_f16_e32 v61, 0xb93d, v60
	v_fmamk_f16 v64, v44, 0x36a6, v20
	v_mul_f16_e32 v65, 0xba0c, v47
	v_add_f16_e32 v17, v52, v17
	v_fmamk_f16 v52, v34, 0xbbeb, v56
	v_mul_f16_e32 v79, 0xbbeb, v46
	v_add_f16_e32 v70, v72, v70
	v_fma_f16 v72, v21, 0x36a6, -v77
	v_add_f16_e32 v19, v61, v19
	v_add_f16_e32 v61, v0, v64
	v_fmamk_f16 v64, v12, 0xb93d, v65
	v_mul_f16_e32 v66, 0x3482, v48
	v_add_f16_e32 v17, v52, v17
	v_mul_f16_e32 v33, 0x3abb, v33
	v_mul_f16_e32 v52, 0x3abb, v49
	v_add_f16_e32 v70, v72, v70
	v_fma_f16 v72, v49, 0xb08e, -v79
	v_add_f16_e32 v61, v64, v61
	v_fmamk_f16 v64, v51, 0xbbad, v66
	v_mul_f16_e32 v67, 0x3beb, v50
	v_fmamk_f16 v69, v8, 0x3853, v33
	v_mul_f16_e32 v29, 0x36a6, v29
	v_fmamk_f16 v71, v46, 0xb853, v52
	v_add_f16_e32 v28, v0, v28
	v_add_f16_e32 v70, v72, v70
	v_add_f16_e32 v61, v64, v61
	v_fmamk_f16 v64, v55, 0xb08e, v67
	v_add_f16_e32 v69, v14, v69
	v_fmamk_f16 v72, v1, 0x3b47, v29
	v_add_f16_e32 v17, v71, v17
	v_mul_f16_e32 v71, 0x3853, v54
	v_add_f16_e32 v27, v27, v14
	v_add_f16_e32 v28, v31, v28
	v_mul_f16_e32 v76, 0xb482, v13
	v_add_f16_e32 v61, v64, v61
	v_add_f16_e32 v64, v72, v69
	v_fmamk_f16 v72, v60, 0x3abb, v71
	v_mul_f16_e32 v13, 0xb853, v13
	v_add_f16_e32 v9, v9, v27
	v_add_f16_e32 v28, v35, v28
	v_mul_f16_e32 v73, 0x3b47, v54
	v_add_f16_e32 v27, v72, v61
	v_fmamk_f16 v61, v44, 0x3abb, v13
	v_add_f16_e32 v9, v10, v9
	v_mul_f16_e32 v10, 0xbb47, v47
	v_add_f16_e32 v28, v41, v28
	v_mul_f16_e32 v78, 0x3853, v47
	v_add_f16_e32 v47, v0, v61
	v_add_f16_e32 v2, v2, v9
	v_fmamk_f16 v9, v12, 0x36a6, v10
	v_mul_f16_e32 v41, 0xbbeb, v48
	v_add_f16_e32 v24, v24, v28
	v_add_f16_e32 v62, v14, v62
	v_add_f16_e32 v59, v68, v59
	v_fma_f16 v68, v60, 0x36a6, -v73
	v_add_f16_e32 v2, v3, v2
	v_add_f16_e32 v3, v9, v47
	v_fmamk_f16 v9, v51, 0xb08e, v41
	v_add_f16_e32 v24, v40, v24
	v_add_f16_e32 v62, v74, v62
	v_fmamk_f16 v74, v25, 0xb93d, v75
	v_add_f16_e32 v59, v68, v59
	v_fma_f16 v68, v44, 0xbbad, -v76
	v_add_f16_e32 v2, v5, v2
	v_fmac_f16_e32 v26, 0xbb47, v8
	v_add_f16_e32 v3, v9, v3
	v_mul_f16_e32 v5, 0xba0c, v50
	v_add_f16_e32 v9, v42, v24
	v_add_f16_e32 v62, v74, v62
	v_fmamk_f16 v74, v21, 0x36a6, v77
	v_add_f16_e32 v68, v0, v68
	v_fma_f16 v80, v12, 0x3abb, -v78
	v_mul_f16_e32 v81, 0xba0c, v48
	v_add_f16_e32 v2, v6, v2
	v_add_f16_e32 v6, v14, v26
	v_fmamk_f16 v24, v55, 0xb93d, v5
	v_mul_f16_e32 v26, 0xb482, v54
	v_add_f16_e32 v9, v39, v9
	v_add_f16_e32 v62, v74, v62
	v_fmamk_f16 v74, v49, 0xb08e, v79
	v_add_f16_e32 v68, v80, v68
	v_fma_f16 v80, v51, 0xb93d, -v81
	v_mul_f16_e32 v82, 0x3b47, v50
	v_add_f16_e32 v2, v7, v2
	v_add_f16_e32 v3, v24, v3
	v_fmamk_f16 v7, v60, 0xbbad, v26
	v_add_f16_e32 v9, v32, v9
	v_mul_f16_e32 v25, 0xb08e, v25
	v_add_f16_e32 v62, v74, v62
	v_add_f16_e32 v68, v80, v68
	v_fma_f16 v74, v55, 0x36a6, -v82
	v_mul_f16_e32 v80, 0xbbeb, v54
	v_fmac_f16_e32 v76, 0xbbad, v44
	v_add_f16_e32 v3, v7, v3
	v_add_f16_e32 v7, v18, v9
	v_fma_f16 v9, v44, 0x36a6, -v20
	v_fmac_f16_e32 v33, 0xb853, v8
	v_fma_f16 v8, v44, 0x3abb, -v13
	v_fmamk_f16 v69, v43, 0x3beb, v25
	v_mul_f16_e32 v21, 0xb93d, v21
	v_add_f16_e32 v68, v74, v68
	v_fma_f16 v74, v60, 0xb08e, -v80
	v_add_f16_e32 v75, v0, v76
	v_fmac_f16_e32 v78, 0x3abb, v12
	v_fmac_f16_e32 v45, 0xba0c, v1
	v_add_f16_e32 v9, v0, v9
	v_fma_f16 v13, v12, 0xb93d, -v65
	v_add_f16_e32 v14, v14, v33
	v_fmac_f16_e32 v29, 0xbb47, v1
	v_add_f16_e32 v0, v0, v8
	v_fma_f16 v1, v12, 0x36a6, -v10
	v_add_f16_e32 v64, v69, v64
	v_fmamk_f16 v69, v34, 0x3a0c, v21
	v_mul_f16_e32 v35, 0xbbad, v49
	v_add_f16_e32 v68, v74, v68
	v_add_f16_e32 v74, v78, v75
	v_fmac_f16_e32 v81, 0xb93d, v51
	v_add_f16_e32 v6, v45, v6
	v_fmac_f16_e32 v58, 0x3482, v43
	v_add_f16_e32 v8, v13, v9
	v_fma_f16 v9, v51, 0xbbad, -v66
	v_add_f16_e32 v10, v29, v14
	v_fmac_f16_e32 v25, 0xbbeb, v43
	v_add_f16_e32 v0, v1, v0
	v_fma_f16 v1, v51, 0xb08e, -v41
	v_add_f16_e32 v31, v69, v64
	v_fmamk_f16 v48, v46, 0x3482, v35
	v_add_f16_e32 v2, v22, v2
	v_add_f16_e32 v74, v81, v74
	v_fmac_f16_e32 v82, 0x36a6, v55
	v_add_f16_e32 v6, v58, v6
	v_fmac_f16_e32 v56, 0x3beb, v34
	v_add_f16_e32 v8, v9, v8
	v_fma_f16 v9, v55, 0xb08e, -v67
	v_add_f16_e32 v10, v25, v10
	v_fmac_f16_e32 v21, 0xba0c, v34
	v_add_f16_e32 v0, v1, v0
	v_fma_f16 v1, v55, 0xb93d, -v5
	v_add_f16_e32 v28, v48, v31
	v_add_f16_e32 v2, v23, v2
	;; [unrolled: 1-line block ×3, first 2 shown]
	v_fmac_f16_e32 v80, 0xb08e, v60
	v_fmac_f16_e32 v73, 0x36a6, v60
	v_add_f16_e32 v6, v56, v6
	v_fmac_f16_e32 v52, 0x3853, v46
	v_add_f16_e32 v5, v9, v8
	v_fma_f16 v8, v60, 0x3abb, -v71
	v_add_f16_e32 v9, v21, v10
	v_fmac_f16_e32 v35, 0xb482, v46
	v_add_f16_e32 v0, v1, v0
	v_fma_f16 v1, v60, 0xbbad, -v26
	v_pack_b32_f16 v2, v7, v2
	v_pack_b32_f16 v3, v3, v28
	v_add_f16_e32 v63, v80, v63
	v_add_f16_e32 v30, v73, v30
	v_add_f16_e32 v6, v52, v6
	v_add_f16_e32 v5, v8, v5
	v_add_f16_e32 v7, v35, v9
	v_add_f16_e32 v0, v1, v0
	ds_store_2addr_b32 v37, v2, v3 offset1:136
	v_pack_b32_f16 v1, v27, v17
	v_pack_b32_f16 v2, v19, v16
	v_add_nc_u32_e32 v3, 0x400, v37
	v_pack_b32_f16 v8, v30, v53
	v_pack_b32_f16 v9, v63, v70
	v_add_nc_u32_e32 v10, 0x800, v37
	;; [unrolled: 3-line block ×4, first 2 shown]
	v_pack_b32_f16 v0, v0, v7
	ds_store_2addr_b32 v3, v1, v2 offset0:16 offset1:152
	ds_store_2addr_b32 v10, v8, v9 offset0:32 offset1:168
	;; [unrolled: 1-line block ×4, first 2 shown]
	ds_store_b32 v37, v0 offset:5440
.LBB0_21:
	s_wait_alu 0xfffe
	s_or_b32 exec_lo, exec_lo, s1
	global_wb scope:SCOPE_SE
	s_wait_dscnt 0x0
	s_barrier_signal -1
	s_barrier_wait -1
	global_inv scope:SCOPE_SE
	s_and_b32 exec_lo, exec_lo, vcc_lo
	s_cbranch_execz .LBB0_23
; %bb.22:
	global_load_b32 v0, v37, s[12:13]
	ds_load_b32 v1, v37
	s_mov_b32 s8, 0xb8d015e7
	s_mov_b32 s9, 0x3f45e75b
	v_mad_co_u64_u32 v[6:7], null, s4, v38, 0
	s_wait_dscnt 0x0
	v_lshrrev_b32_e32 v2, 16, v1
	s_wait_loadcnt 0x0
	v_lshrrev_b32_e32 v3, 16, v0
	s_delay_alu instid0(VALU_DEP_1) | instskip(SKIP_1) | instid1(VALU_DEP_2)
	v_mul_f16_e32 v4, v2, v3
	v_mul_f16_e32 v3, v1, v3
	v_fmac_f16_e32 v4, v1, v0
	s_delay_alu instid0(VALU_DEP_2) | instskip(NEXT) | instid1(VALU_DEP_2)
	v_fma_f16 v0, v0, v2, -v3
	v_cvt_f32_f16_e32 v1, v4
	s_delay_alu instid0(VALU_DEP_2) | instskip(SKIP_1) | instid1(VALU_DEP_3)
	v_cvt_f32_f16_e32 v2, v0
	v_mad_co_u64_u32 v[4:5], null, s6, v15, 0
	v_cvt_f64_f32_e32 v[0:1], v1
	s_delay_alu instid0(VALU_DEP_3) | instskip(SKIP_1) | instid1(VALU_DEP_2)
	v_cvt_f64_f32_e32 v[2:3], v2
	s_wait_alu 0xfffe
	v_mul_f64_e32 v[0:1], s[8:9], v[0:1]
	s_delay_alu instid0(VALU_DEP_2) | instskip(NEXT) | instid1(VALU_DEP_2)
	v_mul_f64_e32 v[2:3], s[8:9], v[2:3]
	v_and_or_b32 v0, 0x1ff, v1, v0
	s_delay_alu instid0(VALU_DEP_2)
	v_and_or_b32 v2, 0x1ff, v3, v2
	v_lshrrev_b32_e32 v8, 8, v1
	v_bfe_u32 v10, v1, 20, 11
	v_lshrrev_b32_e32 v9, 8, v3
	v_cmp_ne_u32_e32 vcc_lo, 0, v0
	v_bfe_u32 v11, v3, 20, 11
	v_mov_b32_e32 v0, v7
	v_sub_nc_u32_e32 v13, 0x3f1, v10
	v_add_nc_u32_e32 v10, 0xfffffc10, v10
	v_cndmask_b32_e64 v12, 0, 1, vcc_lo
	v_cmp_ne_u32_e32 vcc_lo, 0, v2
	v_sub_nc_u32_e32 v14, 0x3f1, v11
	v_med3_i32 v13, v13, 0, 13
	v_lshrrev_b32_e32 v3, 16, v3
	v_and_or_b32 v12, 0xffe, v8, v12
	s_wait_alu 0xfffd
	v_cndmask_b32_e64 v2, 0, 1, vcc_lo
	v_mad_co_u64_u32 v[7:8], null, s7, v15, v[5:6]
	v_med3_i32 v14, v14, 0, 13
	v_or_b32_e32 v15, 0x1000, v12
	s_delay_alu instid0(VALU_DEP_4) | instskip(SKIP_1) | instid1(VALU_DEP_4)
	v_and_or_b32 v2, 0xffe, v9, v2
	s_mul_u64 s[6:7], s[4:5], 0x160
	v_mov_b32_e32 v5, v7
	s_delay_alu instid0(VALU_DEP_2) | instskip(SKIP_3) | instid1(VALU_DEP_4)
	v_or_b32_e32 v16, 0x1000, v2
	v_mad_co_u64_u32 v[8:9], null, s5, v38, v[0:1]
	v_lshrrev_b32_e32 v0, v13, v15
	v_lshrrev_b32_e32 v1, 16, v1
	;; [unrolled: 1-line block ×3, first 2 shown]
	v_lshlrev_b64_e32 v[4:5], 2, v[4:5]
	s_delay_alu instid0(VALU_DEP_4) | instskip(NEXT) | instid1(VALU_DEP_3)
	v_lshlrev_b32_e32 v13, v13, v0
	v_dual_mov_b32 v7, v8 :: v_dual_lshlrev_b32 v8, v14, v9
	v_lshl_or_b32 v14, v10, 12, v12
	s_delay_alu instid0(VALU_DEP_3) | instskip(NEXT) | instid1(VALU_DEP_3)
	v_cmp_ne_u32_e32 vcc_lo, v13, v15
	v_lshlrev_b64_e32 v[6:7], 2, v[6:7]
	s_wait_alu 0xfffd
	v_cndmask_b32_e64 v13, 0, 1, vcc_lo
	v_cmp_ne_u32_e32 vcc_lo, v8, v16
	s_delay_alu instid0(VALU_DEP_2) | instskip(SKIP_4) | instid1(VALU_DEP_3)
	v_or_b32_e32 v0, v0, v13
	s_wait_alu 0xfffd
	v_cndmask_b32_e64 v8, 0, 1, vcc_lo
	v_cmp_gt_i32_e32 vcc_lo, 1, v10
	v_add_nc_u32_e32 v11, 0xfffffc10, v11
	v_or_b32_e32 v8, v9, v8
	s_wait_alu 0xfffd
	v_cndmask_b32_e32 v0, v14, v0, vcc_lo
	s_delay_alu instid0(VALU_DEP_3) | instskip(SKIP_2) | instid1(VALU_DEP_2)
	v_lshl_or_b32 v13, v11, 12, v2
	v_cmp_gt_i32_e32 vcc_lo, 1, v11
	s_wait_alu 0xfffd
	v_cndmask_b32_e32 v8, v13, v8, vcc_lo
	v_cmp_ne_u32_e32 vcc_lo, 0, v12
	v_and_b32_e32 v12, 7, v0
	v_lshrrev_b32_e32 v0, 2, v0
	s_wait_alu 0xfffd
	v_cndmask_b32_e64 v9, 0, 1, vcc_lo
	v_cmp_ne_u32_e32 vcc_lo, 0, v2
	v_cmp_eq_u32_e64 s0, 3, v12
	s_delay_alu instid0(VALU_DEP_3) | instskip(SKIP_3) | instid1(VALU_DEP_2)
	v_lshl_or_b32 v9, v9, 9, 0x7c00
	s_wait_alu 0xfffd
	v_cndmask_b32_e64 v2, 0, 1, vcc_lo
	v_cmp_lt_i32_e32 vcc_lo, 5, v12
	v_lshl_or_b32 v2, v2, 9, 0x7c00
	v_and_b32_e32 v13, 7, v8
	v_lshrrev_b32_e32 v8, 2, v8
	s_or_b32 vcc_lo, s0, vcc_lo
	s_wait_alu 0xfffe
	v_add_co_ci_u32_e32 v0, vcc_lo, 0, v0, vcc_lo
	v_cmp_lt_i32_e64 s1, 5, v13
	v_cmp_eq_u32_e64 s2, 3, v13
	s_delay_alu instid0(VALU_DEP_1)
	s_or_b32 vcc_lo, s2, s1
	s_wait_alu 0xfffe
	v_add_co_ci_u32_e32 v8, vcc_lo, 0, v8, vcc_lo
	v_cmp_gt_i32_e32 vcc_lo, 31, v10
	s_wait_alu 0xfffd
	v_cndmask_b32_e32 v0, 0x7c00, v0, vcc_lo
	v_cmp_gt_i32_e32 vcc_lo, 31, v11
	s_wait_alu 0xfffd
	v_cndmask_b32_e32 v8, 0x7c00, v8, vcc_lo
	v_cmp_eq_u32_e32 vcc_lo, 0x40f, v10
	s_wait_alu 0xfffd
	v_cndmask_b32_e32 v0, v0, v9, vcc_lo
	v_cmp_eq_u32_e32 vcc_lo, 0x40f, v11
	s_wait_alu 0xfffd
	v_cndmask_b32_e32 v2, v8, v2, vcc_lo
	s_delay_alu instid0(VALU_DEP_3)
	v_and_or_b32 v8, 0x8000, v1, v0
	v_add_co_u32 v0, vcc_lo, s14, v4
	s_wait_alu 0xfffd
	v_add_co_ci_u32_e32 v1, vcc_lo, s15, v5, vcc_lo
	v_and_or_b32 v4, 0x8000, v3, v2
	v_and_b32_e32 v5, 0xffff, v8
	v_add_co_u32 v2, vcc_lo, v0, v6
	s_wait_alu 0xfffd
	v_add_co_ci_u32_e32 v3, vcc_lo, v1, v7, vcc_lo
	s_delay_alu instid0(VALU_DEP_3)
	v_lshl_or_b32 v4, v4, 16, v5
	global_store_b32 v[2:3], v4, off
	global_load_b32 v6, v37, s[12:13] offset:352
	ds_load_2addr_b32 v[4:5], v37 offset0:88 offset1:176
	s_wait_dscnt 0x0
	v_lshrrev_b32_e32 v7, 16, v4
	s_wait_loadcnt 0x0
	v_lshrrev_b32_e32 v8, 16, v6
	s_delay_alu instid0(VALU_DEP_1) | instskip(SKIP_1) | instid1(VALU_DEP_2)
	v_mul_f16_e32 v9, v7, v8
	v_mul_f16_e32 v8, v4, v8
	v_fmac_f16_e32 v9, v4, v6
	s_delay_alu instid0(VALU_DEP_2) | instskip(NEXT) | instid1(VALU_DEP_2)
	v_fma_f16 v4, v6, v7, -v8
	v_cvt_f32_f16_e32 v6, v9
	s_delay_alu instid0(VALU_DEP_2) | instskip(NEXT) | instid1(VALU_DEP_2)
	v_cvt_f32_f16_e32 v4, v4
	v_cvt_f64_f32_e32 v[6:7], v6
	s_delay_alu instid0(VALU_DEP_2) | instskip(NEXT) | instid1(VALU_DEP_2)
	v_cvt_f64_f32_e32 v[8:9], v4
	v_mul_f64_e32 v[6:7], s[8:9], v[6:7]
	s_delay_alu instid0(VALU_DEP_2) | instskip(NEXT) | instid1(VALU_DEP_2)
	v_mul_f64_e32 v[8:9], s[8:9], v[8:9]
	v_and_or_b32 v4, 0x1ff, v7, v6
	s_delay_alu instid0(VALU_DEP_2)
	v_and_or_b32 v8, 0x1ff, v9, v8
	v_lshrrev_b32_e32 v6, 8, v7
	v_bfe_u32 v10, v7, 20, 11
	v_lshrrev_b32_e32 v11, 8, v9
	v_cmp_ne_u32_e32 vcc_lo, 0, v4
	v_bfe_u32 v12, v9, 20, 11
	v_lshrrev_b32_e32 v7, 16, v7
	v_sub_nc_u32_e32 v13, 0x3f1, v10
	v_add_nc_u32_e32 v10, 0xfffffc10, v10
	s_wait_alu 0xfffd
	v_cndmask_b32_e64 v4, 0, 1, vcc_lo
	v_cmp_ne_u32_e32 vcc_lo, 0, v8
	v_lshrrev_b32_e32 v9, 16, v9
	s_delay_alu instid0(VALU_DEP_3) | instskip(SKIP_4) | instid1(VALU_DEP_3)
	v_and_or_b32 v4, 0xffe, v6, v4
	s_wait_alu 0xfffd
	v_cndmask_b32_e64 v8, 0, 1, vcc_lo
	v_sub_nc_u32_e32 v6, 0x3f1, v12
	v_add_nc_u32_e32 v12, 0xfffffc10, v12
	v_and_or_b32 v8, 0xffe, v11, v8
	v_med3_i32 v11, v13, 0, 13
	v_or_b32_e32 v13, 0x1000, v4
	v_med3_i32 v6, v6, 0, 13
	s_delay_alu instid0(VALU_DEP_4) | instskip(NEXT) | instid1(VALU_DEP_3)
	v_or_b32_e32 v14, 0x1000, v8
	v_lshrrev_b32_e32 v15, v11, v13
	s_delay_alu instid0(VALU_DEP_2) | instskip(NEXT) | instid1(VALU_DEP_2)
	v_lshrrev_b32_e32 v16, v6, v14
	v_lshlrev_b32_e32 v11, v11, v15
	s_delay_alu instid0(VALU_DEP_2) | instskip(NEXT) | instid1(VALU_DEP_2)
	v_lshlrev_b32_e32 v6, v6, v16
	v_cmp_ne_u32_e32 vcc_lo, v11, v13
	v_lshl_or_b32 v13, v10, 12, v4
	s_wait_alu 0xfffd
	v_cndmask_b32_e64 v11, 0, 1, vcc_lo
	v_cmp_ne_u32_e32 vcc_lo, v6, v14
	v_lshl_or_b32 v14, v12, 12, v8
	s_delay_alu instid0(VALU_DEP_3) | instskip(SKIP_3) | instid1(VALU_DEP_2)
	v_or_b32_e32 v11, v15, v11
	s_wait_alu 0xfffd
	v_cndmask_b32_e64 v6, 0, 1, vcc_lo
	v_cmp_gt_i32_e32 vcc_lo, 1, v10
	v_or_b32_e32 v6, v16, v6
	s_wait_alu 0xfffd
	v_cndmask_b32_e32 v11, v13, v11, vcc_lo
	v_cmp_gt_i32_e32 vcc_lo, 1, v12
	s_wait_alu 0xfffd
	s_delay_alu instid0(VALU_DEP_2) | instskip(SKIP_2) | instid1(VALU_DEP_3)
	v_dual_cndmask_b32 v6, v14, v6 :: v_dual_and_b32 v13, 7, v11
	v_cmp_ne_u32_e32 vcc_lo, 0, v4
	v_lshrrev_b32_e32 v11, 2, v11
	v_cmp_eq_u32_e64 s0, 3, v13
	s_delay_alu instid0(VALU_DEP_4)
	v_and_b32_e32 v14, 7, v6
	s_wait_alu 0xfffd
	v_cndmask_b32_e64 v4, 0, 1, vcc_lo
	v_cmp_ne_u32_e32 vcc_lo, 0, v8
	v_lshrrev_b32_e32 v6, 2, v6
	v_cmp_lt_i32_e64 s1, 5, v14
	v_cmp_eq_u32_e64 s2, 3, v14
	s_wait_alu 0xfffd
	v_cndmask_b32_e64 v8, 0, 1, vcc_lo
	v_cmp_lt_i32_e32 vcc_lo, 5, v13
	v_lshl_or_b32 v4, v4, 9, 0x7c00
	s_delay_alu instid0(VALU_DEP_3)
	v_lshl_or_b32 v8, v8, 9, 0x7c00
	s_or_b32 vcc_lo, s0, vcc_lo
	s_wait_alu 0xfffe
	v_add_co_ci_u32_e32 v11, vcc_lo, 0, v11, vcc_lo
	s_or_b32 vcc_lo, s2, s1
	s_wait_alu 0xfffe
	v_add_co_ci_u32_e32 v6, vcc_lo, 0, v6, vcc_lo
	v_cmp_gt_i32_e32 vcc_lo, 31, v10
	s_wait_alu 0xfffd
	v_cndmask_b32_e32 v11, 0x7c00, v11, vcc_lo
	v_cmp_gt_i32_e32 vcc_lo, 31, v12
	s_wait_alu 0xfffd
	v_cndmask_b32_e32 v6, 0x7c00, v6, vcc_lo
	v_cmp_eq_u32_e32 vcc_lo, 0x40f, v10
	s_wait_alu 0xfffd
	v_cndmask_b32_e32 v4, v11, v4, vcc_lo
	v_cmp_eq_u32_e32 vcc_lo, 0x40f, v12
	s_delay_alu instid0(VALU_DEP_2)
	v_and_or_b32 v4, 0x8000, v7, v4
	s_wait_alu 0xfffd
	v_cndmask_b32_e32 v6, v6, v8, vcc_lo
	v_add_co_u32 v2, vcc_lo, v2, s6
	s_wait_alu 0xfffd
	v_add_co_ci_u32_e32 v3, vcc_lo, s7, v3, vcc_lo
	s_delay_alu instid0(VALU_DEP_3) | instskip(SKIP_1) | instid1(VALU_DEP_1)
	v_and_or_b32 v6, 0x8000, v9, v6
	v_and_b32_e32 v4, 0xffff, v4
	v_lshl_or_b32 v4, v6, 16, v4
	v_lshrrev_b32_e32 v6, 16, v5
	global_store_b32 v[2:3], v4, off
	global_load_b32 v4, v37, s[12:13] offset:704
	s_wait_loadcnt 0x0
	v_lshrrev_b32_e32 v7, 16, v4
	s_delay_alu instid0(VALU_DEP_1) | instskip(SKIP_1) | instid1(VALU_DEP_2)
	v_mul_f16_e32 v8, v6, v7
	v_mul_f16_e32 v7, v5, v7
	v_fmac_f16_e32 v8, v5, v4
	s_delay_alu instid0(VALU_DEP_2) | instskip(NEXT) | instid1(VALU_DEP_2)
	v_fma_f16 v4, v4, v6, -v7
	v_cvt_f32_f16_e32 v5, v8
	s_delay_alu instid0(VALU_DEP_2) | instskip(NEXT) | instid1(VALU_DEP_2)
	v_cvt_f32_f16_e32 v6, v4
	v_cvt_f64_f32_e32 v[4:5], v5
	s_delay_alu instid0(VALU_DEP_2) | instskip(NEXT) | instid1(VALU_DEP_2)
	v_cvt_f64_f32_e32 v[6:7], v6
	v_mul_f64_e32 v[4:5], s[8:9], v[4:5]
	s_delay_alu instid0(VALU_DEP_2) | instskip(NEXT) | instid1(VALU_DEP_2)
	v_mul_f64_e32 v[6:7], s[8:9], v[6:7]
	v_and_or_b32 v4, 0x1ff, v5, v4
	s_delay_alu instid0(VALU_DEP_2)
	v_and_or_b32 v6, 0x1ff, v7, v6
	v_lshrrev_b32_e32 v8, 8, v5
	v_bfe_u32 v9, v5, 20, 11
	v_lshrrev_b32_e32 v10, 8, v7
	v_cmp_ne_u32_e32 vcc_lo, 0, v4
	v_bfe_u32 v11, v7, 20, 11
	v_lshrrev_b32_e32 v5, 16, v5
	v_sub_nc_u32_e32 v12, 0x3f1, v9
	v_add_nc_u32_e32 v9, 0xfffffc10, v9
	s_wait_alu 0xfffd
	v_cndmask_b32_e64 v4, 0, 1, vcc_lo
	v_cmp_ne_u32_e32 vcc_lo, 0, v6
	v_lshrrev_b32_e32 v7, 16, v7
	s_delay_alu instid0(VALU_DEP_3) | instskip(SKIP_4) | instid1(VALU_DEP_3)
	v_and_or_b32 v4, 0xffe, v8, v4
	s_wait_alu 0xfffd
	v_cndmask_b32_e64 v6, 0, 1, vcc_lo
	v_sub_nc_u32_e32 v8, 0x3f1, v11
	v_add_nc_u32_e32 v11, 0xfffffc10, v11
	v_and_or_b32 v6, 0xffe, v10, v6
	v_med3_i32 v10, v12, 0, 13
	v_or_b32_e32 v12, 0x1000, v4
	v_med3_i32 v8, v8, 0, 13
	s_delay_alu instid0(VALU_DEP_4) | instskip(NEXT) | instid1(VALU_DEP_3)
	v_or_b32_e32 v13, 0x1000, v6
	v_lshrrev_b32_e32 v14, v10, v12
	s_delay_alu instid0(VALU_DEP_2) | instskip(NEXT) | instid1(VALU_DEP_2)
	v_lshrrev_b32_e32 v15, v8, v13
	v_lshlrev_b32_e32 v10, v10, v14
	s_delay_alu instid0(VALU_DEP_2) | instskip(NEXT) | instid1(VALU_DEP_2)
	v_lshlrev_b32_e32 v8, v8, v15
	v_cmp_ne_u32_e32 vcc_lo, v10, v12
	v_lshl_or_b32 v12, v9, 12, v4
	s_wait_alu 0xfffd
	v_cndmask_b32_e64 v10, 0, 1, vcc_lo
	v_cmp_ne_u32_e32 vcc_lo, v8, v13
	v_lshl_or_b32 v13, v11, 12, v6
	s_delay_alu instid0(VALU_DEP_3) | instskip(SKIP_3) | instid1(VALU_DEP_2)
	v_or_b32_e32 v10, v14, v10
	s_wait_alu 0xfffd
	v_cndmask_b32_e64 v8, 0, 1, vcc_lo
	v_cmp_gt_i32_e32 vcc_lo, 1, v9
	v_or_b32_e32 v8, v15, v8
	s_wait_alu 0xfffd
	v_cndmask_b32_e32 v10, v12, v10, vcc_lo
	v_cmp_gt_i32_e32 vcc_lo, 1, v11
	s_delay_alu instid0(VALU_DEP_2)
	v_and_b32_e32 v12, 7, v10
	s_wait_alu 0xfffd
	v_cndmask_b32_e32 v8, v13, v8, vcc_lo
	v_cmp_ne_u32_e32 vcc_lo, 0, v4
	v_lshrrev_b32_e32 v10, 2, v10
	v_cmp_eq_u32_e64 s0, 3, v12
	s_delay_alu instid0(VALU_DEP_4)
	v_and_b32_e32 v13, 7, v8
	s_wait_alu 0xfffd
	v_cndmask_b32_e64 v4, 0, 1, vcc_lo
	v_cmp_ne_u32_e32 vcc_lo, 0, v6
	v_lshrrev_b32_e32 v8, 2, v8
	v_cmp_lt_i32_e64 s1, 5, v13
	v_cmp_eq_u32_e64 s2, 3, v13
	s_wait_alu 0xfffd
	v_cndmask_b32_e64 v6, 0, 1, vcc_lo
	v_cmp_lt_i32_e32 vcc_lo, 5, v12
	v_lshl_or_b32 v4, v4, 9, 0x7c00
	s_delay_alu instid0(VALU_DEP_3)
	v_lshl_or_b32 v6, v6, 9, 0x7c00
	s_or_b32 vcc_lo, s0, vcc_lo
	s_wait_alu 0xfffe
	v_add_co_ci_u32_e32 v10, vcc_lo, 0, v10, vcc_lo
	s_or_b32 vcc_lo, s2, s1
	s_wait_alu 0xfffe
	v_add_co_ci_u32_e32 v8, vcc_lo, 0, v8, vcc_lo
	v_cmp_gt_i32_e32 vcc_lo, 31, v9
	s_wait_alu 0xfffd
	v_cndmask_b32_e32 v10, 0x7c00, v10, vcc_lo
	v_cmp_gt_i32_e32 vcc_lo, 31, v11
	s_wait_alu 0xfffd
	v_cndmask_b32_e32 v8, 0x7c00, v8, vcc_lo
	v_cmp_eq_u32_e32 vcc_lo, 0x40f, v9
	s_wait_alu 0xfffd
	v_cndmask_b32_e32 v4, v10, v4, vcc_lo
	v_cmp_eq_u32_e32 vcc_lo, 0x40f, v11
	s_delay_alu instid0(VALU_DEP_2)
	v_and_or_b32 v4, 0x8000, v5, v4
	s_wait_alu 0xfffd
	v_cndmask_b32_e32 v6, v8, v6, vcc_lo
	v_add_co_u32 v2, vcc_lo, v2, s6
	s_wait_alu 0xfffd
	v_add_co_ci_u32_e32 v3, vcc_lo, s7, v3, vcc_lo
	s_delay_alu instid0(VALU_DEP_3) | instskip(SKIP_1) | instid1(VALU_DEP_1)
	v_and_or_b32 v5, 0x8000, v7, v6
	v_and_b32_e32 v4, 0xffff, v4
	v_lshl_or_b32 v4, v5, 16, v4
	global_store_b32 v[2:3], v4, off
	global_load_b32 v6, v37, s[12:13] offset:1056
	v_add_nc_u32_e32 v4, 0x400, v37
	ds_load_2addr_b32 v[4:5], v4 offset0:8 offset1:96
	s_wait_dscnt 0x0
	v_lshrrev_b32_e32 v7, 16, v4
	s_wait_loadcnt 0x0
	v_lshrrev_b32_e32 v8, 16, v6
	s_delay_alu instid0(VALU_DEP_1) | instskip(SKIP_1) | instid1(VALU_DEP_2)
	v_mul_f16_e32 v9, v7, v8
	v_mul_f16_e32 v8, v4, v8
	v_fmac_f16_e32 v9, v4, v6
	s_delay_alu instid0(VALU_DEP_2) | instskip(NEXT) | instid1(VALU_DEP_2)
	v_fma_f16 v4, v6, v7, -v8
	v_cvt_f32_f16_e32 v6, v9
	s_delay_alu instid0(VALU_DEP_2) | instskip(NEXT) | instid1(VALU_DEP_2)
	v_cvt_f32_f16_e32 v4, v4
	v_cvt_f64_f32_e32 v[6:7], v6
	s_delay_alu instid0(VALU_DEP_2) | instskip(NEXT) | instid1(VALU_DEP_2)
	v_cvt_f64_f32_e32 v[8:9], v4
	v_mul_f64_e32 v[6:7], s[8:9], v[6:7]
	s_delay_alu instid0(VALU_DEP_2) | instskip(NEXT) | instid1(VALU_DEP_2)
	v_mul_f64_e32 v[8:9], s[8:9], v[8:9]
	v_and_or_b32 v4, 0x1ff, v7, v6
	s_delay_alu instid0(VALU_DEP_2)
	v_and_or_b32 v8, 0x1ff, v9, v8
	v_lshrrev_b32_e32 v6, 8, v7
	v_bfe_u32 v10, v7, 20, 11
	v_lshrrev_b32_e32 v11, 8, v9
	v_cmp_ne_u32_e32 vcc_lo, 0, v4
	v_bfe_u32 v12, v9, 20, 11
	v_lshrrev_b32_e32 v7, 16, v7
	v_sub_nc_u32_e32 v13, 0x3f1, v10
	v_add_nc_u32_e32 v10, 0xfffffc10, v10
	s_wait_alu 0xfffd
	v_cndmask_b32_e64 v4, 0, 1, vcc_lo
	v_cmp_ne_u32_e32 vcc_lo, 0, v8
	v_lshrrev_b32_e32 v9, 16, v9
	s_delay_alu instid0(VALU_DEP_3) | instskip(SKIP_4) | instid1(VALU_DEP_3)
	v_and_or_b32 v4, 0xffe, v6, v4
	s_wait_alu 0xfffd
	v_cndmask_b32_e64 v8, 0, 1, vcc_lo
	v_sub_nc_u32_e32 v6, 0x3f1, v12
	v_add_nc_u32_e32 v12, 0xfffffc10, v12
	v_and_or_b32 v8, 0xffe, v11, v8
	v_med3_i32 v11, v13, 0, 13
	v_or_b32_e32 v13, 0x1000, v4
	v_med3_i32 v6, v6, 0, 13
	s_delay_alu instid0(VALU_DEP_4) | instskip(NEXT) | instid1(VALU_DEP_3)
	v_or_b32_e32 v14, 0x1000, v8
	v_lshrrev_b32_e32 v15, v11, v13
	s_delay_alu instid0(VALU_DEP_2) | instskip(NEXT) | instid1(VALU_DEP_2)
	v_lshrrev_b32_e32 v16, v6, v14
	v_lshlrev_b32_e32 v11, v11, v15
	s_delay_alu instid0(VALU_DEP_2) | instskip(NEXT) | instid1(VALU_DEP_2)
	v_lshlrev_b32_e32 v6, v6, v16
	v_cmp_ne_u32_e32 vcc_lo, v11, v13
	v_lshl_or_b32 v13, v10, 12, v4
	s_wait_alu 0xfffd
	v_cndmask_b32_e64 v11, 0, 1, vcc_lo
	v_cmp_ne_u32_e32 vcc_lo, v6, v14
	v_lshl_or_b32 v14, v12, 12, v8
	s_delay_alu instid0(VALU_DEP_3) | instskip(SKIP_3) | instid1(VALU_DEP_2)
	v_or_b32_e32 v11, v15, v11
	s_wait_alu 0xfffd
	v_cndmask_b32_e64 v6, 0, 1, vcc_lo
	v_cmp_gt_i32_e32 vcc_lo, 1, v10
	v_or_b32_e32 v6, v16, v6
	s_wait_alu 0xfffd
	v_cndmask_b32_e32 v11, v13, v11, vcc_lo
	v_cmp_gt_i32_e32 vcc_lo, 1, v12
	s_wait_alu 0xfffd
	s_delay_alu instid0(VALU_DEP_2) | instskip(SKIP_2) | instid1(VALU_DEP_3)
	v_dual_cndmask_b32 v6, v14, v6 :: v_dual_and_b32 v13, 7, v11
	v_cmp_ne_u32_e32 vcc_lo, 0, v4
	v_lshrrev_b32_e32 v11, 2, v11
	v_cmp_eq_u32_e64 s0, 3, v13
	s_delay_alu instid0(VALU_DEP_4)
	v_and_b32_e32 v14, 7, v6
	s_wait_alu 0xfffd
	v_cndmask_b32_e64 v4, 0, 1, vcc_lo
	v_cmp_ne_u32_e32 vcc_lo, 0, v8
	v_lshrrev_b32_e32 v6, 2, v6
	v_cmp_lt_i32_e64 s1, 5, v14
	v_cmp_eq_u32_e64 s2, 3, v14
	s_wait_alu 0xfffd
	v_cndmask_b32_e64 v8, 0, 1, vcc_lo
	v_cmp_lt_i32_e32 vcc_lo, 5, v13
	v_lshl_or_b32 v4, v4, 9, 0x7c00
	s_delay_alu instid0(VALU_DEP_3)
	v_lshl_or_b32 v8, v8, 9, 0x7c00
	s_or_b32 vcc_lo, s0, vcc_lo
	s_wait_alu 0xfffe
	v_add_co_ci_u32_e32 v11, vcc_lo, 0, v11, vcc_lo
	s_or_b32 vcc_lo, s2, s1
	s_wait_alu 0xfffe
	v_add_co_ci_u32_e32 v6, vcc_lo, 0, v6, vcc_lo
	v_cmp_gt_i32_e32 vcc_lo, 31, v10
	s_wait_alu 0xfffd
	v_cndmask_b32_e32 v11, 0x7c00, v11, vcc_lo
	v_cmp_gt_i32_e32 vcc_lo, 31, v12
	s_wait_alu 0xfffd
	v_cndmask_b32_e32 v6, 0x7c00, v6, vcc_lo
	v_cmp_eq_u32_e32 vcc_lo, 0x40f, v10
	s_wait_alu 0xfffd
	v_cndmask_b32_e32 v4, v11, v4, vcc_lo
	v_cmp_eq_u32_e32 vcc_lo, 0x40f, v12
	s_delay_alu instid0(VALU_DEP_2)
	v_and_or_b32 v4, 0x8000, v7, v4
	s_wait_alu 0xfffd
	v_cndmask_b32_e32 v6, v6, v8, vcc_lo
	v_add_co_u32 v2, vcc_lo, v2, s6
	s_wait_alu 0xfffd
	v_add_co_ci_u32_e32 v3, vcc_lo, s7, v3, vcc_lo
	s_delay_alu instid0(VALU_DEP_3) | instskip(SKIP_1) | instid1(VALU_DEP_1)
	v_and_or_b32 v6, 0x8000, v9, v6
	v_and_b32_e32 v4, 0xffff, v4
	v_lshl_or_b32 v4, v6, 16, v4
	v_lshrrev_b32_e32 v6, 16, v5
	global_store_b32 v[2:3], v4, off
	global_load_b32 v4, v37, s[12:13] offset:1408
	s_wait_loadcnt 0x0
	v_lshrrev_b32_e32 v7, 16, v4
	s_delay_alu instid0(VALU_DEP_1) | instskip(SKIP_1) | instid1(VALU_DEP_2)
	v_mul_f16_e32 v8, v6, v7
	v_mul_f16_e32 v7, v5, v7
	v_fmac_f16_e32 v8, v5, v4
	s_delay_alu instid0(VALU_DEP_2) | instskip(NEXT) | instid1(VALU_DEP_2)
	v_fma_f16 v4, v4, v6, -v7
	v_cvt_f32_f16_e32 v5, v8
	s_delay_alu instid0(VALU_DEP_2) | instskip(NEXT) | instid1(VALU_DEP_2)
	v_cvt_f32_f16_e32 v6, v4
	v_cvt_f64_f32_e32 v[4:5], v5
	s_delay_alu instid0(VALU_DEP_2) | instskip(NEXT) | instid1(VALU_DEP_2)
	v_cvt_f64_f32_e32 v[6:7], v6
	v_mul_f64_e32 v[4:5], s[8:9], v[4:5]
	s_delay_alu instid0(VALU_DEP_2) | instskip(NEXT) | instid1(VALU_DEP_2)
	v_mul_f64_e32 v[6:7], s[8:9], v[6:7]
	v_and_or_b32 v4, 0x1ff, v5, v4
	s_delay_alu instid0(VALU_DEP_2)
	v_and_or_b32 v6, 0x1ff, v7, v6
	v_lshrrev_b32_e32 v8, 8, v5
	v_bfe_u32 v9, v5, 20, 11
	v_lshrrev_b32_e32 v10, 8, v7
	v_cmp_ne_u32_e32 vcc_lo, 0, v4
	v_bfe_u32 v11, v7, 20, 11
	v_lshrrev_b32_e32 v5, 16, v5
	v_sub_nc_u32_e32 v12, 0x3f1, v9
	v_add_nc_u32_e32 v9, 0xfffffc10, v9
	s_wait_alu 0xfffd
	v_cndmask_b32_e64 v4, 0, 1, vcc_lo
	v_cmp_ne_u32_e32 vcc_lo, 0, v6
	v_lshrrev_b32_e32 v7, 16, v7
	s_delay_alu instid0(VALU_DEP_3) | instskip(SKIP_4) | instid1(VALU_DEP_3)
	v_and_or_b32 v4, 0xffe, v8, v4
	s_wait_alu 0xfffd
	v_cndmask_b32_e64 v6, 0, 1, vcc_lo
	v_sub_nc_u32_e32 v8, 0x3f1, v11
	v_add_nc_u32_e32 v11, 0xfffffc10, v11
	v_and_or_b32 v6, 0xffe, v10, v6
	v_med3_i32 v10, v12, 0, 13
	v_or_b32_e32 v12, 0x1000, v4
	v_med3_i32 v8, v8, 0, 13
	s_delay_alu instid0(VALU_DEP_4) | instskip(NEXT) | instid1(VALU_DEP_3)
	v_or_b32_e32 v13, 0x1000, v6
	v_lshrrev_b32_e32 v14, v10, v12
	s_delay_alu instid0(VALU_DEP_2) | instskip(NEXT) | instid1(VALU_DEP_2)
	v_lshrrev_b32_e32 v15, v8, v13
	v_lshlrev_b32_e32 v10, v10, v14
	s_delay_alu instid0(VALU_DEP_2) | instskip(NEXT) | instid1(VALU_DEP_2)
	v_lshlrev_b32_e32 v8, v8, v15
	v_cmp_ne_u32_e32 vcc_lo, v10, v12
	v_lshl_or_b32 v12, v9, 12, v4
	s_wait_alu 0xfffd
	v_cndmask_b32_e64 v10, 0, 1, vcc_lo
	v_cmp_ne_u32_e32 vcc_lo, v8, v13
	v_lshl_or_b32 v13, v11, 12, v6
	s_delay_alu instid0(VALU_DEP_3) | instskip(SKIP_3) | instid1(VALU_DEP_2)
	v_or_b32_e32 v10, v14, v10
	s_wait_alu 0xfffd
	v_cndmask_b32_e64 v8, 0, 1, vcc_lo
	v_cmp_gt_i32_e32 vcc_lo, 1, v9
	v_or_b32_e32 v8, v15, v8
	s_wait_alu 0xfffd
	v_cndmask_b32_e32 v10, v12, v10, vcc_lo
	v_cmp_gt_i32_e32 vcc_lo, 1, v11
	s_delay_alu instid0(VALU_DEP_2)
	v_and_b32_e32 v12, 7, v10
	s_wait_alu 0xfffd
	v_cndmask_b32_e32 v8, v13, v8, vcc_lo
	v_cmp_ne_u32_e32 vcc_lo, 0, v4
	v_lshrrev_b32_e32 v10, 2, v10
	v_cmp_eq_u32_e64 s0, 3, v12
	s_delay_alu instid0(VALU_DEP_4)
	v_and_b32_e32 v13, 7, v8
	s_wait_alu 0xfffd
	v_cndmask_b32_e64 v4, 0, 1, vcc_lo
	v_cmp_ne_u32_e32 vcc_lo, 0, v6
	v_lshrrev_b32_e32 v8, 2, v8
	v_cmp_lt_i32_e64 s1, 5, v13
	v_cmp_eq_u32_e64 s2, 3, v13
	s_wait_alu 0xfffd
	v_cndmask_b32_e64 v6, 0, 1, vcc_lo
	v_cmp_lt_i32_e32 vcc_lo, 5, v12
	v_lshl_or_b32 v4, v4, 9, 0x7c00
	s_delay_alu instid0(VALU_DEP_3)
	v_lshl_or_b32 v6, v6, 9, 0x7c00
	s_or_b32 vcc_lo, s0, vcc_lo
	s_wait_alu 0xfffe
	v_add_co_ci_u32_e32 v10, vcc_lo, 0, v10, vcc_lo
	s_or_b32 vcc_lo, s2, s1
	s_wait_alu 0xfffe
	v_add_co_ci_u32_e32 v8, vcc_lo, 0, v8, vcc_lo
	v_cmp_gt_i32_e32 vcc_lo, 31, v9
	s_wait_alu 0xfffd
	v_cndmask_b32_e32 v10, 0x7c00, v10, vcc_lo
	v_cmp_gt_i32_e32 vcc_lo, 31, v11
	s_wait_alu 0xfffd
	v_cndmask_b32_e32 v8, 0x7c00, v8, vcc_lo
	v_cmp_eq_u32_e32 vcc_lo, 0x40f, v9
	s_wait_alu 0xfffd
	v_cndmask_b32_e32 v4, v10, v4, vcc_lo
	v_cmp_eq_u32_e32 vcc_lo, 0x40f, v11
	s_delay_alu instid0(VALU_DEP_2)
	v_and_or_b32 v4, 0x8000, v5, v4
	s_wait_alu 0xfffd
	v_cndmask_b32_e32 v6, v8, v6, vcc_lo
	v_add_co_u32 v2, vcc_lo, v2, s6
	s_wait_alu 0xfffd
	v_add_co_ci_u32_e32 v3, vcc_lo, s7, v3, vcc_lo
	s_delay_alu instid0(VALU_DEP_3) | instskip(SKIP_1) | instid1(VALU_DEP_1)
	v_and_or_b32 v5, 0x8000, v7, v6
	v_and_b32_e32 v4, 0xffff, v4
	v_lshl_or_b32 v4, v5, 16, v4
	global_store_b32 v[2:3], v4, off
	global_load_b32 v6, v37, s[12:13] offset:1760
	v_add_nc_u32_e32 v4, 0x600, v37
	ds_load_2addr_b32 v[4:5], v4 offset0:56 offset1:144
	s_wait_dscnt 0x0
	v_lshrrev_b32_e32 v7, 16, v4
	s_wait_loadcnt 0x0
	v_lshrrev_b32_e32 v8, 16, v6
	s_delay_alu instid0(VALU_DEP_1) | instskip(SKIP_1) | instid1(VALU_DEP_2)
	v_mul_f16_e32 v9, v7, v8
	v_mul_f16_e32 v8, v4, v8
	v_fmac_f16_e32 v9, v4, v6
	s_delay_alu instid0(VALU_DEP_2) | instskip(NEXT) | instid1(VALU_DEP_2)
	v_fma_f16 v4, v6, v7, -v8
	v_cvt_f32_f16_e32 v6, v9
	s_delay_alu instid0(VALU_DEP_2) | instskip(NEXT) | instid1(VALU_DEP_2)
	v_cvt_f32_f16_e32 v4, v4
	v_cvt_f64_f32_e32 v[6:7], v6
	s_delay_alu instid0(VALU_DEP_2) | instskip(NEXT) | instid1(VALU_DEP_2)
	v_cvt_f64_f32_e32 v[8:9], v4
	v_mul_f64_e32 v[6:7], s[8:9], v[6:7]
	s_delay_alu instid0(VALU_DEP_2) | instskip(NEXT) | instid1(VALU_DEP_2)
	v_mul_f64_e32 v[8:9], s[8:9], v[8:9]
	v_and_or_b32 v4, 0x1ff, v7, v6
	s_delay_alu instid0(VALU_DEP_2)
	v_and_or_b32 v8, 0x1ff, v9, v8
	v_lshrrev_b32_e32 v6, 8, v7
	v_bfe_u32 v10, v7, 20, 11
	v_lshrrev_b32_e32 v11, 8, v9
	v_cmp_ne_u32_e32 vcc_lo, 0, v4
	v_bfe_u32 v12, v9, 20, 11
	v_lshrrev_b32_e32 v7, 16, v7
	v_sub_nc_u32_e32 v13, 0x3f1, v10
	v_add_nc_u32_e32 v10, 0xfffffc10, v10
	s_wait_alu 0xfffd
	v_cndmask_b32_e64 v4, 0, 1, vcc_lo
	v_cmp_ne_u32_e32 vcc_lo, 0, v8
	v_lshrrev_b32_e32 v9, 16, v9
	s_delay_alu instid0(VALU_DEP_3) | instskip(SKIP_4) | instid1(VALU_DEP_3)
	v_and_or_b32 v4, 0xffe, v6, v4
	s_wait_alu 0xfffd
	v_cndmask_b32_e64 v8, 0, 1, vcc_lo
	v_sub_nc_u32_e32 v6, 0x3f1, v12
	v_add_nc_u32_e32 v12, 0xfffffc10, v12
	v_and_or_b32 v8, 0xffe, v11, v8
	v_med3_i32 v11, v13, 0, 13
	v_or_b32_e32 v13, 0x1000, v4
	v_med3_i32 v6, v6, 0, 13
	s_delay_alu instid0(VALU_DEP_4) | instskip(NEXT) | instid1(VALU_DEP_3)
	v_or_b32_e32 v14, 0x1000, v8
	v_lshrrev_b32_e32 v15, v11, v13
	s_delay_alu instid0(VALU_DEP_2) | instskip(NEXT) | instid1(VALU_DEP_2)
	v_lshrrev_b32_e32 v16, v6, v14
	v_lshlrev_b32_e32 v11, v11, v15
	s_delay_alu instid0(VALU_DEP_2) | instskip(NEXT) | instid1(VALU_DEP_2)
	v_lshlrev_b32_e32 v6, v6, v16
	v_cmp_ne_u32_e32 vcc_lo, v11, v13
	v_lshl_or_b32 v13, v10, 12, v4
	s_wait_alu 0xfffd
	v_cndmask_b32_e64 v11, 0, 1, vcc_lo
	v_cmp_ne_u32_e32 vcc_lo, v6, v14
	v_lshl_or_b32 v14, v12, 12, v8
	s_delay_alu instid0(VALU_DEP_3) | instskip(SKIP_3) | instid1(VALU_DEP_2)
	v_or_b32_e32 v11, v15, v11
	s_wait_alu 0xfffd
	v_cndmask_b32_e64 v6, 0, 1, vcc_lo
	v_cmp_gt_i32_e32 vcc_lo, 1, v10
	v_or_b32_e32 v6, v16, v6
	s_wait_alu 0xfffd
	v_cndmask_b32_e32 v11, v13, v11, vcc_lo
	v_cmp_gt_i32_e32 vcc_lo, 1, v12
	s_wait_alu 0xfffd
	s_delay_alu instid0(VALU_DEP_2) | instskip(SKIP_2) | instid1(VALU_DEP_3)
	v_dual_cndmask_b32 v6, v14, v6 :: v_dual_and_b32 v13, 7, v11
	v_cmp_ne_u32_e32 vcc_lo, 0, v4
	v_lshrrev_b32_e32 v11, 2, v11
	v_cmp_eq_u32_e64 s0, 3, v13
	s_delay_alu instid0(VALU_DEP_4)
	v_and_b32_e32 v14, 7, v6
	s_wait_alu 0xfffd
	v_cndmask_b32_e64 v4, 0, 1, vcc_lo
	v_cmp_ne_u32_e32 vcc_lo, 0, v8
	v_lshrrev_b32_e32 v6, 2, v6
	v_cmp_lt_i32_e64 s1, 5, v14
	v_cmp_eq_u32_e64 s2, 3, v14
	s_wait_alu 0xfffd
	v_cndmask_b32_e64 v8, 0, 1, vcc_lo
	v_cmp_lt_i32_e32 vcc_lo, 5, v13
	v_lshl_or_b32 v4, v4, 9, 0x7c00
	s_delay_alu instid0(VALU_DEP_3)
	v_lshl_or_b32 v8, v8, 9, 0x7c00
	s_or_b32 vcc_lo, s0, vcc_lo
	s_wait_alu 0xfffe
	v_add_co_ci_u32_e32 v11, vcc_lo, 0, v11, vcc_lo
	s_or_b32 vcc_lo, s2, s1
	s_wait_alu 0xfffe
	v_add_co_ci_u32_e32 v6, vcc_lo, 0, v6, vcc_lo
	v_cmp_gt_i32_e32 vcc_lo, 31, v10
	s_wait_alu 0xfffd
	v_cndmask_b32_e32 v11, 0x7c00, v11, vcc_lo
	v_cmp_gt_i32_e32 vcc_lo, 31, v12
	s_wait_alu 0xfffd
	v_cndmask_b32_e32 v6, 0x7c00, v6, vcc_lo
	v_cmp_eq_u32_e32 vcc_lo, 0x40f, v10
	s_wait_alu 0xfffd
	v_cndmask_b32_e32 v4, v11, v4, vcc_lo
	v_cmp_eq_u32_e32 vcc_lo, 0x40f, v12
	s_delay_alu instid0(VALU_DEP_2)
	v_and_or_b32 v4, 0x8000, v7, v4
	s_wait_alu 0xfffd
	v_cndmask_b32_e32 v6, v6, v8, vcc_lo
	v_add_co_u32 v2, vcc_lo, v2, s6
	s_wait_alu 0xfffd
	v_add_co_ci_u32_e32 v3, vcc_lo, s7, v3, vcc_lo
	s_delay_alu instid0(VALU_DEP_3) | instskip(SKIP_1) | instid1(VALU_DEP_1)
	v_and_or_b32 v6, 0x8000, v9, v6
	v_and_b32_e32 v4, 0xffff, v4
	v_lshl_or_b32 v4, v6, 16, v4
	v_lshrrev_b32_e32 v6, 16, v5
	global_store_b32 v[2:3], v4, off
	global_load_b32 v4, v37, s[12:13] offset:2112
	s_wait_loadcnt 0x0
	v_lshrrev_b32_e32 v7, 16, v4
	s_delay_alu instid0(VALU_DEP_1) | instskip(SKIP_1) | instid1(VALU_DEP_2)
	v_mul_f16_e32 v8, v6, v7
	v_mul_f16_e32 v7, v5, v7
	v_fmac_f16_e32 v8, v5, v4
	s_delay_alu instid0(VALU_DEP_2) | instskip(NEXT) | instid1(VALU_DEP_2)
	v_fma_f16 v4, v4, v6, -v7
	v_cvt_f32_f16_e32 v5, v8
	s_delay_alu instid0(VALU_DEP_2) | instskip(NEXT) | instid1(VALU_DEP_2)
	v_cvt_f32_f16_e32 v6, v4
	v_cvt_f64_f32_e32 v[4:5], v5
	s_delay_alu instid0(VALU_DEP_2) | instskip(NEXT) | instid1(VALU_DEP_2)
	v_cvt_f64_f32_e32 v[6:7], v6
	v_mul_f64_e32 v[4:5], s[8:9], v[4:5]
	s_delay_alu instid0(VALU_DEP_2) | instskip(NEXT) | instid1(VALU_DEP_2)
	v_mul_f64_e32 v[6:7], s[8:9], v[6:7]
	v_and_or_b32 v4, 0x1ff, v5, v4
	s_delay_alu instid0(VALU_DEP_2)
	v_and_or_b32 v6, 0x1ff, v7, v6
	v_lshrrev_b32_e32 v8, 8, v5
	v_bfe_u32 v9, v5, 20, 11
	v_lshrrev_b32_e32 v10, 8, v7
	v_cmp_ne_u32_e32 vcc_lo, 0, v4
	v_bfe_u32 v11, v7, 20, 11
	v_lshrrev_b32_e32 v5, 16, v5
	v_sub_nc_u32_e32 v12, 0x3f1, v9
	v_add_nc_u32_e32 v9, 0xfffffc10, v9
	s_wait_alu 0xfffd
	v_cndmask_b32_e64 v4, 0, 1, vcc_lo
	v_cmp_ne_u32_e32 vcc_lo, 0, v6
	v_lshrrev_b32_e32 v7, 16, v7
	s_delay_alu instid0(VALU_DEP_3) | instskip(SKIP_4) | instid1(VALU_DEP_3)
	v_and_or_b32 v4, 0xffe, v8, v4
	s_wait_alu 0xfffd
	v_cndmask_b32_e64 v6, 0, 1, vcc_lo
	v_sub_nc_u32_e32 v8, 0x3f1, v11
	v_add_nc_u32_e32 v11, 0xfffffc10, v11
	v_and_or_b32 v6, 0xffe, v10, v6
	v_med3_i32 v10, v12, 0, 13
	v_or_b32_e32 v12, 0x1000, v4
	v_med3_i32 v8, v8, 0, 13
	s_delay_alu instid0(VALU_DEP_4) | instskip(NEXT) | instid1(VALU_DEP_3)
	v_or_b32_e32 v13, 0x1000, v6
	v_lshrrev_b32_e32 v14, v10, v12
	s_delay_alu instid0(VALU_DEP_2) | instskip(NEXT) | instid1(VALU_DEP_2)
	v_lshrrev_b32_e32 v15, v8, v13
	v_lshlrev_b32_e32 v10, v10, v14
	s_delay_alu instid0(VALU_DEP_2) | instskip(NEXT) | instid1(VALU_DEP_2)
	v_lshlrev_b32_e32 v8, v8, v15
	v_cmp_ne_u32_e32 vcc_lo, v10, v12
	v_lshl_or_b32 v12, v9, 12, v4
	s_wait_alu 0xfffd
	v_cndmask_b32_e64 v10, 0, 1, vcc_lo
	v_cmp_ne_u32_e32 vcc_lo, v8, v13
	v_lshl_or_b32 v13, v11, 12, v6
	s_delay_alu instid0(VALU_DEP_3) | instskip(SKIP_3) | instid1(VALU_DEP_2)
	v_or_b32_e32 v10, v14, v10
	s_wait_alu 0xfffd
	v_cndmask_b32_e64 v8, 0, 1, vcc_lo
	v_cmp_gt_i32_e32 vcc_lo, 1, v9
	v_or_b32_e32 v8, v15, v8
	s_wait_alu 0xfffd
	v_cndmask_b32_e32 v10, v12, v10, vcc_lo
	v_cmp_gt_i32_e32 vcc_lo, 1, v11
	s_delay_alu instid0(VALU_DEP_2)
	v_and_b32_e32 v12, 7, v10
	s_wait_alu 0xfffd
	v_cndmask_b32_e32 v8, v13, v8, vcc_lo
	v_cmp_ne_u32_e32 vcc_lo, 0, v4
	v_lshrrev_b32_e32 v10, 2, v10
	v_cmp_eq_u32_e64 s0, 3, v12
	s_delay_alu instid0(VALU_DEP_4)
	v_and_b32_e32 v13, 7, v8
	s_wait_alu 0xfffd
	v_cndmask_b32_e64 v4, 0, 1, vcc_lo
	v_cmp_ne_u32_e32 vcc_lo, 0, v6
	v_lshrrev_b32_e32 v8, 2, v8
	v_cmp_lt_i32_e64 s1, 5, v13
	v_cmp_eq_u32_e64 s2, 3, v13
	s_wait_alu 0xfffd
	v_cndmask_b32_e64 v6, 0, 1, vcc_lo
	v_cmp_lt_i32_e32 vcc_lo, 5, v12
	v_lshl_or_b32 v4, v4, 9, 0x7c00
	s_delay_alu instid0(VALU_DEP_3)
	v_lshl_or_b32 v6, v6, 9, 0x7c00
	s_or_b32 vcc_lo, s0, vcc_lo
	s_wait_alu 0xfffe
	v_add_co_ci_u32_e32 v10, vcc_lo, 0, v10, vcc_lo
	s_or_b32 vcc_lo, s2, s1
	s_wait_alu 0xfffe
	v_add_co_ci_u32_e32 v8, vcc_lo, 0, v8, vcc_lo
	v_cmp_gt_i32_e32 vcc_lo, 31, v9
	s_wait_alu 0xfffd
	v_cndmask_b32_e32 v10, 0x7c00, v10, vcc_lo
	v_cmp_gt_i32_e32 vcc_lo, 31, v11
	s_wait_alu 0xfffd
	v_cndmask_b32_e32 v8, 0x7c00, v8, vcc_lo
	v_cmp_eq_u32_e32 vcc_lo, 0x40f, v9
	s_wait_alu 0xfffd
	v_cndmask_b32_e32 v4, v10, v4, vcc_lo
	v_cmp_eq_u32_e32 vcc_lo, 0x40f, v11
	s_delay_alu instid0(VALU_DEP_2)
	v_and_or_b32 v4, 0x8000, v5, v4
	s_wait_alu 0xfffd
	v_cndmask_b32_e32 v6, v8, v6, vcc_lo
	v_add_co_u32 v2, vcc_lo, v2, s6
	s_wait_alu 0xfffd
	v_add_co_ci_u32_e32 v3, vcc_lo, s7, v3, vcc_lo
	s_delay_alu instid0(VALU_DEP_3) | instskip(SKIP_1) | instid1(VALU_DEP_1)
	v_and_or_b32 v5, 0x8000, v7, v6
	v_and_b32_e32 v4, 0xffff, v4
	v_lshl_or_b32 v4, v5, 16, v4
	global_store_b32 v[2:3], v4, off
	global_load_b32 v6, v37, s[12:13] offset:2464
	v_add_nc_u32_e32 v4, 0x800, v37
	ds_load_2addr_b32 v[4:5], v4 offset0:104 offset1:192
	s_wait_dscnt 0x0
	v_lshrrev_b32_e32 v7, 16, v4
	s_wait_loadcnt 0x0
	v_lshrrev_b32_e32 v8, 16, v6
	s_delay_alu instid0(VALU_DEP_1) | instskip(SKIP_1) | instid1(VALU_DEP_2)
	v_mul_f16_e32 v9, v7, v8
	v_mul_f16_e32 v8, v4, v8
	v_fmac_f16_e32 v9, v4, v6
	s_delay_alu instid0(VALU_DEP_2) | instskip(NEXT) | instid1(VALU_DEP_2)
	v_fma_f16 v4, v6, v7, -v8
	v_cvt_f32_f16_e32 v6, v9
	s_delay_alu instid0(VALU_DEP_2) | instskip(NEXT) | instid1(VALU_DEP_2)
	v_cvt_f32_f16_e32 v4, v4
	v_cvt_f64_f32_e32 v[6:7], v6
	s_delay_alu instid0(VALU_DEP_2) | instskip(NEXT) | instid1(VALU_DEP_2)
	v_cvt_f64_f32_e32 v[8:9], v4
	v_mul_f64_e32 v[6:7], s[8:9], v[6:7]
	s_delay_alu instid0(VALU_DEP_2) | instskip(NEXT) | instid1(VALU_DEP_2)
	v_mul_f64_e32 v[8:9], s[8:9], v[8:9]
	v_and_or_b32 v4, 0x1ff, v7, v6
	s_delay_alu instid0(VALU_DEP_2)
	v_and_or_b32 v8, 0x1ff, v9, v8
	v_lshrrev_b32_e32 v6, 8, v7
	v_bfe_u32 v10, v7, 20, 11
	v_lshrrev_b32_e32 v11, 8, v9
	v_cmp_ne_u32_e32 vcc_lo, 0, v4
	v_bfe_u32 v12, v9, 20, 11
	v_lshrrev_b32_e32 v7, 16, v7
	v_sub_nc_u32_e32 v13, 0x3f1, v10
	v_add_nc_u32_e32 v10, 0xfffffc10, v10
	s_wait_alu 0xfffd
	v_cndmask_b32_e64 v4, 0, 1, vcc_lo
	v_cmp_ne_u32_e32 vcc_lo, 0, v8
	v_lshrrev_b32_e32 v9, 16, v9
	s_delay_alu instid0(VALU_DEP_3) | instskip(SKIP_4) | instid1(VALU_DEP_3)
	v_and_or_b32 v4, 0xffe, v6, v4
	s_wait_alu 0xfffd
	v_cndmask_b32_e64 v8, 0, 1, vcc_lo
	v_sub_nc_u32_e32 v6, 0x3f1, v12
	v_add_nc_u32_e32 v12, 0xfffffc10, v12
	v_and_or_b32 v8, 0xffe, v11, v8
	v_med3_i32 v11, v13, 0, 13
	v_or_b32_e32 v13, 0x1000, v4
	v_med3_i32 v6, v6, 0, 13
	s_delay_alu instid0(VALU_DEP_4) | instskip(NEXT) | instid1(VALU_DEP_3)
	v_or_b32_e32 v14, 0x1000, v8
	v_lshrrev_b32_e32 v15, v11, v13
	s_delay_alu instid0(VALU_DEP_2) | instskip(NEXT) | instid1(VALU_DEP_2)
	v_lshrrev_b32_e32 v16, v6, v14
	v_lshlrev_b32_e32 v11, v11, v15
	s_delay_alu instid0(VALU_DEP_2) | instskip(NEXT) | instid1(VALU_DEP_2)
	v_lshlrev_b32_e32 v6, v6, v16
	v_cmp_ne_u32_e32 vcc_lo, v11, v13
	v_lshl_or_b32 v13, v10, 12, v4
	s_wait_alu 0xfffd
	v_cndmask_b32_e64 v11, 0, 1, vcc_lo
	v_cmp_ne_u32_e32 vcc_lo, v6, v14
	v_lshl_or_b32 v14, v12, 12, v8
	s_delay_alu instid0(VALU_DEP_3) | instskip(SKIP_3) | instid1(VALU_DEP_2)
	v_or_b32_e32 v11, v15, v11
	s_wait_alu 0xfffd
	v_cndmask_b32_e64 v6, 0, 1, vcc_lo
	v_cmp_gt_i32_e32 vcc_lo, 1, v10
	v_or_b32_e32 v6, v16, v6
	s_wait_alu 0xfffd
	v_cndmask_b32_e32 v11, v13, v11, vcc_lo
	v_cmp_gt_i32_e32 vcc_lo, 1, v12
	s_wait_alu 0xfffd
	s_delay_alu instid0(VALU_DEP_2) | instskip(SKIP_2) | instid1(VALU_DEP_3)
	v_dual_cndmask_b32 v6, v14, v6 :: v_dual_and_b32 v13, 7, v11
	v_cmp_ne_u32_e32 vcc_lo, 0, v4
	v_lshrrev_b32_e32 v11, 2, v11
	v_cmp_eq_u32_e64 s0, 3, v13
	s_delay_alu instid0(VALU_DEP_4)
	v_and_b32_e32 v14, 7, v6
	s_wait_alu 0xfffd
	v_cndmask_b32_e64 v4, 0, 1, vcc_lo
	v_cmp_ne_u32_e32 vcc_lo, 0, v8
	v_lshrrev_b32_e32 v6, 2, v6
	v_cmp_lt_i32_e64 s1, 5, v14
	v_cmp_eq_u32_e64 s2, 3, v14
	s_wait_alu 0xfffd
	v_cndmask_b32_e64 v8, 0, 1, vcc_lo
	v_cmp_lt_i32_e32 vcc_lo, 5, v13
	v_lshl_or_b32 v4, v4, 9, 0x7c00
	s_delay_alu instid0(VALU_DEP_3)
	v_lshl_or_b32 v8, v8, 9, 0x7c00
	s_or_b32 vcc_lo, s0, vcc_lo
	s_wait_alu 0xfffe
	v_add_co_ci_u32_e32 v11, vcc_lo, 0, v11, vcc_lo
	s_or_b32 vcc_lo, s2, s1
	s_wait_alu 0xfffe
	v_add_co_ci_u32_e32 v6, vcc_lo, 0, v6, vcc_lo
	v_cmp_gt_i32_e32 vcc_lo, 31, v10
	s_wait_alu 0xfffd
	v_cndmask_b32_e32 v11, 0x7c00, v11, vcc_lo
	v_cmp_gt_i32_e32 vcc_lo, 31, v12
	s_wait_alu 0xfffd
	v_cndmask_b32_e32 v6, 0x7c00, v6, vcc_lo
	v_cmp_eq_u32_e32 vcc_lo, 0x40f, v10
	s_wait_alu 0xfffd
	v_cndmask_b32_e32 v4, v11, v4, vcc_lo
	v_cmp_eq_u32_e32 vcc_lo, 0x40f, v12
	s_delay_alu instid0(VALU_DEP_2)
	v_and_or_b32 v4, 0x8000, v7, v4
	s_wait_alu 0xfffd
	v_cndmask_b32_e32 v6, v6, v8, vcc_lo
	v_add_co_u32 v2, vcc_lo, v2, s6
	s_wait_alu 0xfffd
	v_add_co_ci_u32_e32 v3, vcc_lo, s7, v3, vcc_lo
	s_delay_alu instid0(VALU_DEP_3) | instskip(SKIP_1) | instid1(VALU_DEP_1)
	v_and_or_b32 v6, 0x8000, v9, v6
	v_and_b32_e32 v4, 0xffff, v4
	v_lshl_or_b32 v4, v6, 16, v4
	v_lshrrev_b32_e32 v6, 16, v5
	global_store_b32 v[2:3], v4, off
	global_load_b32 v4, v37, s[12:13] offset:2816
	s_wait_loadcnt 0x0
	v_lshrrev_b32_e32 v7, 16, v4
	s_delay_alu instid0(VALU_DEP_1) | instskip(SKIP_1) | instid1(VALU_DEP_2)
	v_mul_f16_e32 v8, v6, v7
	v_mul_f16_e32 v7, v5, v7
	v_fmac_f16_e32 v8, v5, v4
	s_delay_alu instid0(VALU_DEP_2) | instskip(NEXT) | instid1(VALU_DEP_2)
	v_fma_f16 v4, v4, v6, -v7
	v_cvt_f32_f16_e32 v5, v8
	s_delay_alu instid0(VALU_DEP_2) | instskip(NEXT) | instid1(VALU_DEP_2)
	v_cvt_f32_f16_e32 v6, v4
	v_cvt_f64_f32_e32 v[4:5], v5
	s_delay_alu instid0(VALU_DEP_2) | instskip(NEXT) | instid1(VALU_DEP_2)
	v_cvt_f64_f32_e32 v[6:7], v6
	v_mul_f64_e32 v[4:5], s[8:9], v[4:5]
	s_delay_alu instid0(VALU_DEP_2) | instskip(NEXT) | instid1(VALU_DEP_2)
	v_mul_f64_e32 v[6:7], s[8:9], v[6:7]
	v_and_or_b32 v4, 0x1ff, v5, v4
	s_delay_alu instid0(VALU_DEP_2)
	v_and_or_b32 v6, 0x1ff, v7, v6
	v_lshrrev_b32_e32 v8, 8, v5
	v_bfe_u32 v9, v5, 20, 11
	v_lshrrev_b32_e32 v10, 8, v7
	v_cmp_ne_u32_e32 vcc_lo, 0, v4
	v_bfe_u32 v11, v7, 20, 11
	v_lshrrev_b32_e32 v5, 16, v5
	v_sub_nc_u32_e32 v12, 0x3f1, v9
	v_add_nc_u32_e32 v9, 0xfffffc10, v9
	s_wait_alu 0xfffd
	v_cndmask_b32_e64 v4, 0, 1, vcc_lo
	v_cmp_ne_u32_e32 vcc_lo, 0, v6
	v_lshrrev_b32_e32 v7, 16, v7
	s_delay_alu instid0(VALU_DEP_3) | instskip(SKIP_4) | instid1(VALU_DEP_3)
	v_and_or_b32 v4, 0xffe, v8, v4
	s_wait_alu 0xfffd
	v_cndmask_b32_e64 v6, 0, 1, vcc_lo
	v_sub_nc_u32_e32 v8, 0x3f1, v11
	v_add_nc_u32_e32 v11, 0xfffffc10, v11
	v_and_or_b32 v6, 0xffe, v10, v6
	v_med3_i32 v10, v12, 0, 13
	v_or_b32_e32 v12, 0x1000, v4
	v_med3_i32 v8, v8, 0, 13
	s_delay_alu instid0(VALU_DEP_4) | instskip(NEXT) | instid1(VALU_DEP_3)
	v_or_b32_e32 v13, 0x1000, v6
	v_lshrrev_b32_e32 v14, v10, v12
	s_delay_alu instid0(VALU_DEP_2) | instskip(NEXT) | instid1(VALU_DEP_2)
	v_lshrrev_b32_e32 v15, v8, v13
	v_lshlrev_b32_e32 v10, v10, v14
	s_delay_alu instid0(VALU_DEP_2) | instskip(NEXT) | instid1(VALU_DEP_2)
	v_lshlrev_b32_e32 v8, v8, v15
	v_cmp_ne_u32_e32 vcc_lo, v10, v12
	v_lshl_or_b32 v12, v9, 12, v4
	s_wait_alu 0xfffd
	v_cndmask_b32_e64 v10, 0, 1, vcc_lo
	v_cmp_ne_u32_e32 vcc_lo, v8, v13
	v_lshl_or_b32 v13, v11, 12, v6
	s_delay_alu instid0(VALU_DEP_3) | instskip(SKIP_3) | instid1(VALU_DEP_2)
	v_or_b32_e32 v10, v14, v10
	s_wait_alu 0xfffd
	v_cndmask_b32_e64 v8, 0, 1, vcc_lo
	v_cmp_gt_i32_e32 vcc_lo, 1, v9
	v_or_b32_e32 v8, v15, v8
	s_wait_alu 0xfffd
	v_cndmask_b32_e32 v10, v12, v10, vcc_lo
	v_cmp_gt_i32_e32 vcc_lo, 1, v11
	s_delay_alu instid0(VALU_DEP_2)
	v_and_b32_e32 v12, 7, v10
	s_wait_alu 0xfffd
	v_cndmask_b32_e32 v8, v13, v8, vcc_lo
	v_cmp_ne_u32_e32 vcc_lo, 0, v4
	v_lshrrev_b32_e32 v10, 2, v10
	v_cmp_eq_u32_e64 s0, 3, v12
	s_delay_alu instid0(VALU_DEP_4)
	v_and_b32_e32 v13, 7, v8
	s_wait_alu 0xfffd
	v_cndmask_b32_e64 v4, 0, 1, vcc_lo
	v_cmp_ne_u32_e32 vcc_lo, 0, v6
	v_lshrrev_b32_e32 v8, 2, v8
	v_cmp_lt_i32_e64 s1, 5, v13
	v_cmp_eq_u32_e64 s2, 3, v13
	s_wait_alu 0xfffd
	v_cndmask_b32_e64 v6, 0, 1, vcc_lo
	v_cmp_lt_i32_e32 vcc_lo, 5, v12
	v_lshl_or_b32 v4, v4, 9, 0x7c00
	s_delay_alu instid0(VALU_DEP_3)
	v_lshl_or_b32 v6, v6, 9, 0x7c00
	s_or_b32 vcc_lo, s0, vcc_lo
	s_wait_alu 0xfffe
	v_add_co_ci_u32_e32 v10, vcc_lo, 0, v10, vcc_lo
	s_or_b32 vcc_lo, s2, s1
	s_wait_alu 0xfffe
	v_add_co_ci_u32_e32 v8, vcc_lo, 0, v8, vcc_lo
	v_cmp_gt_i32_e32 vcc_lo, 31, v9
	s_wait_alu 0xfffd
	v_cndmask_b32_e32 v10, 0x7c00, v10, vcc_lo
	v_cmp_gt_i32_e32 vcc_lo, 31, v11
	s_wait_alu 0xfffd
	v_cndmask_b32_e32 v8, 0x7c00, v8, vcc_lo
	v_cmp_eq_u32_e32 vcc_lo, 0x40f, v9
	s_wait_alu 0xfffd
	v_cndmask_b32_e32 v4, v10, v4, vcc_lo
	v_cmp_eq_u32_e32 vcc_lo, 0x40f, v11
	s_delay_alu instid0(VALU_DEP_2)
	v_and_or_b32 v4, 0x8000, v5, v4
	s_wait_alu 0xfffd
	v_cndmask_b32_e32 v6, v8, v6, vcc_lo
	v_add_co_u32 v2, vcc_lo, v2, s6
	s_wait_alu 0xfffd
	v_add_co_ci_u32_e32 v3, vcc_lo, s7, v3, vcc_lo
	s_delay_alu instid0(VALU_DEP_3) | instskip(SKIP_1) | instid1(VALU_DEP_1)
	v_and_or_b32 v5, 0x8000, v7, v6
	v_and_b32_e32 v4, 0xffff, v4
	v_lshl_or_b32 v4, v5, 16, v4
	global_store_b32 v[2:3], v4, off
	global_load_b32 v6, v37, s[12:13] offset:3168
	v_add_nc_u32_e32 v4, 0xc00, v37
	ds_load_2addr_b32 v[4:5], v4 offset0:24 offset1:112
	s_wait_dscnt 0x0
	v_lshrrev_b32_e32 v7, 16, v4
	s_wait_loadcnt 0x0
	v_lshrrev_b32_e32 v8, 16, v6
	s_delay_alu instid0(VALU_DEP_1) | instskip(SKIP_1) | instid1(VALU_DEP_2)
	v_mul_f16_e32 v9, v7, v8
	v_mul_f16_e32 v8, v4, v8
	v_fmac_f16_e32 v9, v4, v6
	s_delay_alu instid0(VALU_DEP_2) | instskip(NEXT) | instid1(VALU_DEP_2)
	v_fma_f16 v4, v6, v7, -v8
	v_cvt_f32_f16_e32 v6, v9
	s_delay_alu instid0(VALU_DEP_2) | instskip(NEXT) | instid1(VALU_DEP_2)
	v_cvt_f32_f16_e32 v4, v4
	v_cvt_f64_f32_e32 v[6:7], v6
	s_delay_alu instid0(VALU_DEP_2) | instskip(NEXT) | instid1(VALU_DEP_2)
	v_cvt_f64_f32_e32 v[8:9], v4
	v_mul_f64_e32 v[6:7], s[8:9], v[6:7]
	s_delay_alu instid0(VALU_DEP_2) | instskip(NEXT) | instid1(VALU_DEP_2)
	v_mul_f64_e32 v[8:9], s[8:9], v[8:9]
	v_and_or_b32 v4, 0x1ff, v7, v6
	s_delay_alu instid0(VALU_DEP_2)
	v_and_or_b32 v8, 0x1ff, v9, v8
	v_lshrrev_b32_e32 v6, 8, v7
	v_bfe_u32 v10, v7, 20, 11
	v_lshrrev_b32_e32 v11, 8, v9
	v_cmp_ne_u32_e32 vcc_lo, 0, v4
	v_bfe_u32 v12, v9, 20, 11
	v_lshrrev_b32_e32 v7, 16, v7
	v_sub_nc_u32_e32 v13, 0x3f1, v10
	v_add_nc_u32_e32 v10, 0xfffffc10, v10
	s_wait_alu 0xfffd
	v_cndmask_b32_e64 v4, 0, 1, vcc_lo
	v_cmp_ne_u32_e32 vcc_lo, 0, v8
	v_lshrrev_b32_e32 v9, 16, v9
	s_delay_alu instid0(VALU_DEP_3) | instskip(SKIP_4) | instid1(VALU_DEP_3)
	v_and_or_b32 v4, 0xffe, v6, v4
	s_wait_alu 0xfffd
	v_cndmask_b32_e64 v8, 0, 1, vcc_lo
	v_sub_nc_u32_e32 v6, 0x3f1, v12
	v_add_nc_u32_e32 v12, 0xfffffc10, v12
	v_and_or_b32 v8, 0xffe, v11, v8
	v_med3_i32 v11, v13, 0, 13
	v_or_b32_e32 v13, 0x1000, v4
	v_med3_i32 v6, v6, 0, 13
	s_delay_alu instid0(VALU_DEP_4) | instskip(NEXT) | instid1(VALU_DEP_3)
	v_or_b32_e32 v14, 0x1000, v8
	v_lshrrev_b32_e32 v15, v11, v13
	s_delay_alu instid0(VALU_DEP_2) | instskip(NEXT) | instid1(VALU_DEP_2)
	v_lshrrev_b32_e32 v16, v6, v14
	v_lshlrev_b32_e32 v11, v11, v15
	s_delay_alu instid0(VALU_DEP_2) | instskip(NEXT) | instid1(VALU_DEP_2)
	v_lshlrev_b32_e32 v6, v6, v16
	v_cmp_ne_u32_e32 vcc_lo, v11, v13
	v_lshl_or_b32 v13, v10, 12, v4
	s_wait_alu 0xfffd
	v_cndmask_b32_e64 v11, 0, 1, vcc_lo
	v_cmp_ne_u32_e32 vcc_lo, v6, v14
	v_lshl_or_b32 v14, v12, 12, v8
	s_delay_alu instid0(VALU_DEP_3) | instskip(SKIP_3) | instid1(VALU_DEP_2)
	v_or_b32_e32 v11, v15, v11
	s_wait_alu 0xfffd
	v_cndmask_b32_e64 v6, 0, 1, vcc_lo
	v_cmp_gt_i32_e32 vcc_lo, 1, v10
	v_or_b32_e32 v6, v16, v6
	s_wait_alu 0xfffd
	v_cndmask_b32_e32 v11, v13, v11, vcc_lo
	v_cmp_gt_i32_e32 vcc_lo, 1, v12
	s_wait_alu 0xfffd
	s_delay_alu instid0(VALU_DEP_2) | instskip(SKIP_2) | instid1(VALU_DEP_3)
	v_dual_cndmask_b32 v6, v14, v6 :: v_dual_and_b32 v13, 7, v11
	v_cmp_ne_u32_e32 vcc_lo, 0, v4
	v_lshrrev_b32_e32 v11, 2, v11
	v_cmp_eq_u32_e64 s0, 3, v13
	s_delay_alu instid0(VALU_DEP_4)
	v_and_b32_e32 v14, 7, v6
	s_wait_alu 0xfffd
	v_cndmask_b32_e64 v4, 0, 1, vcc_lo
	v_cmp_ne_u32_e32 vcc_lo, 0, v8
	v_lshrrev_b32_e32 v6, 2, v6
	v_cmp_lt_i32_e64 s1, 5, v14
	v_cmp_eq_u32_e64 s2, 3, v14
	s_wait_alu 0xfffd
	v_cndmask_b32_e64 v8, 0, 1, vcc_lo
	v_cmp_lt_i32_e32 vcc_lo, 5, v13
	v_lshl_or_b32 v4, v4, 9, 0x7c00
	s_delay_alu instid0(VALU_DEP_3)
	v_lshl_or_b32 v8, v8, 9, 0x7c00
	s_or_b32 vcc_lo, s0, vcc_lo
	s_wait_alu 0xfffe
	v_add_co_ci_u32_e32 v11, vcc_lo, 0, v11, vcc_lo
	s_or_b32 vcc_lo, s2, s1
	s_wait_alu 0xfffe
	v_add_co_ci_u32_e32 v6, vcc_lo, 0, v6, vcc_lo
	v_cmp_gt_i32_e32 vcc_lo, 31, v10
	s_wait_alu 0xfffd
	v_cndmask_b32_e32 v11, 0x7c00, v11, vcc_lo
	v_cmp_gt_i32_e32 vcc_lo, 31, v12
	s_wait_alu 0xfffd
	v_cndmask_b32_e32 v6, 0x7c00, v6, vcc_lo
	v_cmp_eq_u32_e32 vcc_lo, 0x40f, v10
	s_wait_alu 0xfffd
	v_cndmask_b32_e32 v4, v11, v4, vcc_lo
	v_cmp_eq_u32_e32 vcc_lo, 0x40f, v12
	s_delay_alu instid0(VALU_DEP_2)
	v_and_or_b32 v4, 0x8000, v7, v4
	s_wait_alu 0xfffd
	v_cndmask_b32_e32 v6, v6, v8, vcc_lo
	v_add_co_u32 v2, vcc_lo, v2, s6
	s_wait_alu 0xfffd
	v_add_co_ci_u32_e32 v3, vcc_lo, s7, v3, vcc_lo
	s_delay_alu instid0(VALU_DEP_3) | instskip(SKIP_1) | instid1(VALU_DEP_1)
	v_and_or_b32 v6, 0x8000, v9, v6
	v_and_b32_e32 v4, 0xffff, v4
	v_lshl_or_b32 v4, v6, 16, v4
	v_lshrrev_b32_e32 v6, 16, v5
	global_store_b32 v[2:3], v4, off
	global_load_b32 v4, v37, s[12:13] offset:3520
	s_wait_loadcnt 0x0
	v_lshrrev_b32_e32 v7, 16, v4
	s_delay_alu instid0(VALU_DEP_1) | instskip(SKIP_1) | instid1(VALU_DEP_2)
	v_mul_f16_e32 v8, v6, v7
	v_mul_f16_e32 v7, v5, v7
	v_fmac_f16_e32 v8, v5, v4
	s_delay_alu instid0(VALU_DEP_2) | instskip(NEXT) | instid1(VALU_DEP_2)
	v_fma_f16 v4, v4, v6, -v7
	v_cvt_f32_f16_e32 v5, v8
	s_delay_alu instid0(VALU_DEP_2) | instskip(NEXT) | instid1(VALU_DEP_2)
	v_cvt_f32_f16_e32 v6, v4
	v_cvt_f64_f32_e32 v[4:5], v5
	s_delay_alu instid0(VALU_DEP_2) | instskip(NEXT) | instid1(VALU_DEP_2)
	v_cvt_f64_f32_e32 v[6:7], v6
	v_mul_f64_e32 v[4:5], s[8:9], v[4:5]
	s_delay_alu instid0(VALU_DEP_2) | instskip(NEXT) | instid1(VALU_DEP_2)
	v_mul_f64_e32 v[6:7], s[8:9], v[6:7]
	v_and_or_b32 v4, 0x1ff, v5, v4
	s_delay_alu instid0(VALU_DEP_2)
	v_and_or_b32 v6, 0x1ff, v7, v6
	v_lshrrev_b32_e32 v8, 8, v5
	v_bfe_u32 v9, v5, 20, 11
	v_lshrrev_b32_e32 v10, 8, v7
	v_cmp_ne_u32_e32 vcc_lo, 0, v4
	v_bfe_u32 v11, v7, 20, 11
	v_lshrrev_b32_e32 v5, 16, v5
	v_sub_nc_u32_e32 v12, 0x3f1, v9
	v_add_nc_u32_e32 v9, 0xfffffc10, v9
	s_wait_alu 0xfffd
	v_cndmask_b32_e64 v4, 0, 1, vcc_lo
	v_cmp_ne_u32_e32 vcc_lo, 0, v6
	v_lshrrev_b32_e32 v7, 16, v7
	s_delay_alu instid0(VALU_DEP_3) | instskip(SKIP_4) | instid1(VALU_DEP_3)
	v_and_or_b32 v4, 0xffe, v8, v4
	s_wait_alu 0xfffd
	v_cndmask_b32_e64 v6, 0, 1, vcc_lo
	v_sub_nc_u32_e32 v8, 0x3f1, v11
	v_add_nc_u32_e32 v11, 0xfffffc10, v11
	v_and_or_b32 v6, 0xffe, v10, v6
	v_med3_i32 v10, v12, 0, 13
	v_or_b32_e32 v12, 0x1000, v4
	v_med3_i32 v8, v8, 0, 13
	s_delay_alu instid0(VALU_DEP_4) | instskip(NEXT) | instid1(VALU_DEP_3)
	v_or_b32_e32 v13, 0x1000, v6
	v_lshrrev_b32_e32 v14, v10, v12
	s_delay_alu instid0(VALU_DEP_2) | instskip(NEXT) | instid1(VALU_DEP_2)
	v_lshrrev_b32_e32 v15, v8, v13
	v_lshlrev_b32_e32 v10, v10, v14
	s_delay_alu instid0(VALU_DEP_2) | instskip(NEXT) | instid1(VALU_DEP_2)
	v_lshlrev_b32_e32 v8, v8, v15
	v_cmp_ne_u32_e32 vcc_lo, v10, v12
	v_lshl_or_b32 v12, v9, 12, v4
	s_wait_alu 0xfffd
	v_cndmask_b32_e64 v10, 0, 1, vcc_lo
	v_cmp_ne_u32_e32 vcc_lo, v8, v13
	v_lshl_or_b32 v13, v11, 12, v6
	s_delay_alu instid0(VALU_DEP_3) | instskip(SKIP_3) | instid1(VALU_DEP_2)
	v_or_b32_e32 v10, v14, v10
	s_wait_alu 0xfffd
	v_cndmask_b32_e64 v8, 0, 1, vcc_lo
	v_cmp_gt_i32_e32 vcc_lo, 1, v9
	v_or_b32_e32 v8, v15, v8
	s_wait_alu 0xfffd
	v_cndmask_b32_e32 v10, v12, v10, vcc_lo
	v_cmp_gt_i32_e32 vcc_lo, 1, v11
	s_delay_alu instid0(VALU_DEP_2)
	v_and_b32_e32 v12, 7, v10
	s_wait_alu 0xfffd
	v_cndmask_b32_e32 v8, v13, v8, vcc_lo
	v_cmp_ne_u32_e32 vcc_lo, 0, v4
	v_lshrrev_b32_e32 v10, 2, v10
	v_cmp_eq_u32_e64 s0, 3, v12
	s_delay_alu instid0(VALU_DEP_4)
	v_and_b32_e32 v13, 7, v8
	s_wait_alu 0xfffd
	v_cndmask_b32_e64 v4, 0, 1, vcc_lo
	v_cmp_ne_u32_e32 vcc_lo, 0, v6
	v_lshrrev_b32_e32 v8, 2, v8
	v_cmp_lt_i32_e64 s1, 5, v13
	v_cmp_eq_u32_e64 s2, 3, v13
	s_wait_alu 0xfffd
	v_cndmask_b32_e64 v6, 0, 1, vcc_lo
	v_cmp_lt_i32_e32 vcc_lo, 5, v12
	v_lshl_or_b32 v4, v4, 9, 0x7c00
	s_delay_alu instid0(VALU_DEP_3)
	v_lshl_or_b32 v6, v6, 9, 0x7c00
	s_or_b32 vcc_lo, s0, vcc_lo
	s_wait_alu 0xfffe
	v_add_co_ci_u32_e32 v10, vcc_lo, 0, v10, vcc_lo
	s_or_b32 vcc_lo, s2, s1
	s_wait_alu 0xfffe
	v_add_co_ci_u32_e32 v8, vcc_lo, 0, v8, vcc_lo
	v_cmp_gt_i32_e32 vcc_lo, 31, v9
	s_wait_alu 0xfffd
	v_cndmask_b32_e32 v10, 0x7c00, v10, vcc_lo
	v_cmp_gt_i32_e32 vcc_lo, 31, v11
	s_wait_alu 0xfffd
	v_cndmask_b32_e32 v8, 0x7c00, v8, vcc_lo
	v_cmp_eq_u32_e32 vcc_lo, 0x40f, v9
	s_wait_alu 0xfffd
	v_cndmask_b32_e32 v4, v10, v4, vcc_lo
	v_cmp_eq_u32_e32 vcc_lo, 0x40f, v11
	s_delay_alu instid0(VALU_DEP_2)
	v_and_or_b32 v4, 0x8000, v5, v4
	s_wait_alu 0xfffd
	v_cndmask_b32_e32 v6, v8, v6, vcc_lo
	v_add_co_u32 v2, vcc_lo, v2, s6
	s_wait_alu 0xfffd
	v_add_co_ci_u32_e32 v3, vcc_lo, s7, v3, vcc_lo
	s_delay_alu instid0(VALU_DEP_3) | instskip(SKIP_1) | instid1(VALU_DEP_1)
	v_and_or_b32 v5, 0x8000, v7, v6
	v_and_b32_e32 v4, 0xffff, v4
	v_lshl_or_b32 v4, v5, 16, v4
	global_store_b32 v[2:3], v4, off
	global_load_b32 v6, v37, s[12:13] offset:3872
	v_add_nc_u32_e32 v4, 0xe00, v37
	ds_load_2addr_b32 v[4:5], v4 offset0:72 offset1:160
	s_wait_dscnt 0x0
	v_lshrrev_b32_e32 v7, 16, v4
	s_wait_loadcnt 0x0
	v_lshrrev_b32_e32 v8, 16, v6
	s_delay_alu instid0(VALU_DEP_1) | instskip(SKIP_1) | instid1(VALU_DEP_2)
	v_mul_f16_e32 v9, v7, v8
	v_mul_f16_e32 v8, v4, v8
	v_fmac_f16_e32 v9, v4, v6
	s_delay_alu instid0(VALU_DEP_2) | instskip(NEXT) | instid1(VALU_DEP_2)
	v_fma_f16 v4, v6, v7, -v8
	v_cvt_f32_f16_e32 v6, v9
	s_delay_alu instid0(VALU_DEP_2) | instskip(NEXT) | instid1(VALU_DEP_2)
	v_cvt_f32_f16_e32 v4, v4
	v_cvt_f64_f32_e32 v[6:7], v6
	s_delay_alu instid0(VALU_DEP_2) | instskip(NEXT) | instid1(VALU_DEP_2)
	v_cvt_f64_f32_e32 v[8:9], v4
	v_mul_f64_e32 v[6:7], s[8:9], v[6:7]
	s_delay_alu instid0(VALU_DEP_2) | instskip(NEXT) | instid1(VALU_DEP_2)
	v_mul_f64_e32 v[8:9], s[8:9], v[8:9]
	v_and_or_b32 v4, 0x1ff, v7, v6
	s_delay_alu instid0(VALU_DEP_2)
	v_and_or_b32 v8, 0x1ff, v9, v8
	v_lshrrev_b32_e32 v6, 8, v7
	v_bfe_u32 v10, v7, 20, 11
	v_lshrrev_b32_e32 v11, 8, v9
	v_cmp_ne_u32_e32 vcc_lo, 0, v4
	v_bfe_u32 v12, v9, 20, 11
	v_lshrrev_b32_e32 v7, 16, v7
	v_sub_nc_u32_e32 v13, 0x3f1, v10
	v_add_nc_u32_e32 v10, 0xfffffc10, v10
	s_wait_alu 0xfffd
	v_cndmask_b32_e64 v4, 0, 1, vcc_lo
	v_cmp_ne_u32_e32 vcc_lo, 0, v8
	v_lshrrev_b32_e32 v9, 16, v9
	s_delay_alu instid0(VALU_DEP_3) | instskip(SKIP_4) | instid1(VALU_DEP_3)
	v_and_or_b32 v4, 0xffe, v6, v4
	s_wait_alu 0xfffd
	v_cndmask_b32_e64 v8, 0, 1, vcc_lo
	v_sub_nc_u32_e32 v6, 0x3f1, v12
	v_add_nc_u32_e32 v12, 0xfffffc10, v12
	v_and_or_b32 v8, 0xffe, v11, v8
	v_med3_i32 v11, v13, 0, 13
	v_or_b32_e32 v13, 0x1000, v4
	v_med3_i32 v6, v6, 0, 13
	s_delay_alu instid0(VALU_DEP_4) | instskip(NEXT) | instid1(VALU_DEP_3)
	v_or_b32_e32 v14, 0x1000, v8
	v_lshrrev_b32_e32 v15, v11, v13
	s_delay_alu instid0(VALU_DEP_2) | instskip(NEXT) | instid1(VALU_DEP_2)
	v_lshrrev_b32_e32 v16, v6, v14
	v_lshlrev_b32_e32 v11, v11, v15
	s_delay_alu instid0(VALU_DEP_2) | instskip(NEXT) | instid1(VALU_DEP_2)
	v_lshlrev_b32_e32 v6, v6, v16
	v_cmp_ne_u32_e32 vcc_lo, v11, v13
	v_lshl_or_b32 v13, v10, 12, v4
	s_wait_alu 0xfffd
	v_cndmask_b32_e64 v11, 0, 1, vcc_lo
	v_cmp_ne_u32_e32 vcc_lo, v6, v14
	v_lshl_or_b32 v14, v12, 12, v8
	s_delay_alu instid0(VALU_DEP_3) | instskip(SKIP_3) | instid1(VALU_DEP_2)
	v_or_b32_e32 v11, v15, v11
	s_wait_alu 0xfffd
	v_cndmask_b32_e64 v6, 0, 1, vcc_lo
	v_cmp_gt_i32_e32 vcc_lo, 1, v10
	v_or_b32_e32 v6, v16, v6
	s_wait_alu 0xfffd
	v_cndmask_b32_e32 v11, v13, v11, vcc_lo
	v_cmp_gt_i32_e32 vcc_lo, 1, v12
	s_wait_alu 0xfffd
	s_delay_alu instid0(VALU_DEP_2) | instskip(SKIP_2) | instid1(VALU_DEP_3)
	v_dual_cndmask_b32 v6, v14, v6 :: v_dual_and_b32 v13, 7, v11
	v_cmp_ne_u32_e32 vcc_lo, 0, v4
	v_lshrrev_b32_e32 v11, 2, v11
	v_cmp_eq_u32_e64 s0, 3, v13
	s_delay_alu instid0(VALU_DEP_4)
	v_and_b32_e32 v14, 7, v6
	s_wait_alu 0xfffd
	v_cndmask_b32_e64 v4, 0, 1, vcc_lo
	v_cmp_ne_u32_e32 vcc_lo, 0, v8
	v_lshrrev_b32_e32 v6, 2, v6
	v_cmp_lt_i32_e64 s1, 5, v14
	v_cmp_eq_u32_e64 s2, 3, v14
	s_wait_alu 0xfffd
	v_cndmask_b32_e64 v8, 0, 1, vcc_lo
	v_cmp_lt_i32_e32 vcc_lo, 5, v13
	v_lshl_or_b32 v4, v4, 9, 0x7c00
	s_delay_alu instid0(VALU_DEP_3)
	v_lshl_or_b32 v8, v8, 9, 0x7c00
	s_or_b32 vcc_lo, s0, vcc_lo
	s_wait_alu 0xfffe
	v_add_co_ci_u32_e32 v11, vcc_lo, 0, v11, vcc_lo
	s_or_b32 vcc_lo, s2, s1
	s_wait_alu 0xfffe
	v_add_co_ci_u32_e32 v6, vcc_lo, 0, v6, vcc_lo
	v_cmp_gt_i32_e32 vcc_lo, 31, v10
	s_wait_alu 0xfffd
	v_cndmask_b32_e32 v11, 0x7c00, v11, vcc_lo
	v_cmp_gt_i32_e32 vcc_lo, 31, v12
	s_wait_alu 0xfffd
	v_cndmask_b32_e32 v6, 0x7c00, v6, vcc_lo
	v_cmp_eq_u32_e32 vcc_lo, 0x40f, v10
	s_wait_alu 0xfffd
	v_cndmask_b32_e32 v4, v11, v4, vcc_lo
	v_cmp_eq_u32_e32 vcc_lo, 0x40f, v12
	s_delay_alu instid0(VALU_DEP_2)
	v_and_or_b32 v4, 0x8000, v7, v4
	s_wait_alu 0xfffd
	v_cndmask_b32_e32 v6, v6, v8, vcc_lo
	v_add_co_u32 v2, vcc_lo, v2, s6
	s_wait_alu 0xfffd
	v_add_co_ci_u32_e32 v3, vcc_lo, s7, v3, vcc_lo
	s_delay_alu instid0(VALU_DEP_3) | instskip(SKIP_1) | instid1(VALU_DEP_1)
	v_and_or_b32 v6, 0x8000, v9, v6
	v_and_b32_e32 v4, 0xffff, v4
	v_lshl_or_b32 v4, v6, 16, v4
	v_lshrrev_b32_e32 v6, 16, v5
	global_store_b32 v[2:3], v4, off
	global_load_b32 v4, v37, s[12:13] offset:4224
	s_wait_loadcnt 0x0
	v_lshrrev_b32_e32 v7, 16, v4
	s_delay_alu instid0(VALU_DEP_1) | instskip(SKIP_1) | instid1(VALU_DEP_2)
	v_mul_f16_e32 v8, v6, v7
	v_mul_f16_e32 v7, v5, v7
	v_fmac_f16_e32 v8, v5, v4
	s_delay_alu instid0(VALU_DEP_2) | instskip(NEXT) | instid1(VALU_DEP_2)
	v_fma_f16 v4, v4, v6, -v7
	v_cvt_f32_f16_e32 v5, v8
	s_delay_alu instid0(VALU_DEP_2) | instskip(NEXT) | instid1(VALU_DEP_2)
	v_cvt_f32_f16_e32 v6, v4
	v_cvt_f64_f32_e32 v[4:5], v5
	s_delay_alu instid0(VALU_DEP_2) | instskip(NEXT) | instid1(VALU_DEP_2)
	v_cvt_f64_f32_e32 v[6:7], v6
	v_mul_f64_e32 v[4:5], s[8:9], v[4:5]
	s_delay_alu instid0(VALU_DEP_2) | instskip(NEXT) | instid1(VALU_DEP_2)
	v_mul_f64_e32 v[6:7], s[8:9], v[6:7]
	v_and_or_b32 v4, 0x1ff, v5, v4
	s_delay_alu instid0(VALU_DEP_2)
	v_and_or_b32 v6, 0x1ff, v7, v6
	v_lshrrev_b32_e32 v8, 8, v5
	v_bfe_u32 v9, v5, 20, 11
	v_lshrrev_b32_e32 v10, 8, v7
	v_cmp_ne_u32_e32 vcc_lo, 0, v4
	v_bfe_u32 v11, v7, 20, 11
	v_lshrrev_b32_e32 v5, 16, v5
	v_sub_nc_u32_e32 v12, 0x3f1, v9
	v_add_nc_u32_e32 v9, 0xfffffc10, v9
	s_wait_alu 0xfffd
	v_cndmask_b32_e64 v4, 0, 1, vcc_lo
	v_cmp_ne_u32_e32 vcc_lo, 0, v6
	v_lshrrev_b32_e32 v7, 16, v7
	s_delay_alu instid0(VALU_DEP_3) | instskip(SKIP_4) | instid1(VALU_DEP_3)
	v_and_or_b32 v4, 0xffe, v8, v4
	s_wait_alu 0xfffd
	v_cndmask_b32_e64 v6, 0, 1, vcc_lo
	v_sub_nc_u32_e32 v8, 0x3f1, v11
	v_add_nc_u32_e32 v11, 0xfffffc10, v11
	v_and_or_b32 v6, 0xffe, v10, v6
	v_med3_i32 v10, v12, 0, 13
	v_or_b32_e32 v12, 0x1000, v4
	v_med3_i32 v8, v8, 0, 13
	s_delay_alu instid0(VALU_DEP_4) | instskip(NEXT) | instid1(VALU_DEP_3)
	v_or_b32_e32 v13, 0x1000, v6
	v_lshrrev_b32_e32 v14, v10, v12
	s_delay_alu instid0(VALU_DEP_2) | instskip(NEXT) | instid1(VALU_DEP_2)
	v_lshrrev_b32_e32 v15, v8, v13
	v_lshlrev_b32_e32 v10, v10, v14
	s_delay_alu instid0(VALU_DEP_2) | instskip(NEXT) | instid1(VALU_DEP_2)
	v_lshlrev_b32_e32 v8, v8, v15
	v_cmp_ne_u32_e32 vcc_lo, v10, v12
	v_lshl_or_b32 v12, v9, 12, v4
	s_wait_alu 0xfffd
	v_cndmask_b32_e64 v10, 0, 1, vcc_lo
	v_cmp_ne_u32_e32 vcc_lo, v8, v13
	v_lshl_or_b32 v13, v11, 12, v6
	s_delay_alu instid0(VALU_DEP_3) | instskip(SKIP_3) | instid1(VALU_DEP_2)
	v_or_b32_e32 v10, v14, v10
	s_wait_alu 0xfffd
	v_cndmask_b32_e64 v8, 0, 1, vcc_lo
	v_cmp_gt_i32_e32 vcc_lo, 1, v9
	v_or_b32_e32 v8, v15, v8
	s_wait_alu 0xfffd
	v_cndmask_b32_e32 v10, v12, v10, vcc_lo
	v_cmp_gt_i32_e32 vcc_lo, 1, v11
	s_delay_alu instid0(VALU_DEP_2)
	v_and_b32_e32 v12, 7, v10
	s_wait_alu 0xfffd
	v_cndmask_b32_e32 v8, v13, v8, vcc_lo
	v_cmp_ne_u32_e32 vcc_lo, 0, v4
	v_lshrrev_b32_e32 v10, 2, v10
	v_cmp_eq_u32_e64 s0, 3, v12
	s_delay_alu instid0(VALU_DEP_4)
	v_and_b32_e32 v13, 7, v8
	s_wait_alu 0xfffd
	v_cndmask_b32_e64 v4, 0, 1, vcc_lo
	v_cmp_ne_u32_e32 vcc_lo, 0, v6
	v_lshrrev_b32_e32 v8, 2, v8
	v_cmp_lt_i32_e64 s1, 5, v13
	v_cmp_eq_u32_e64 s2, 3, v13
	s_wait_alu 0xfffd
	v_cndmask_b32_e64 v6, 0, 1, vcc_lo
	v_cmp_lt_i32_e32 vcc_lo, 5, v12
	v_lshl_or_b32 v4, v4, 9, 0x7c00
	s_delay_alu instid0(VALU_DEP_3)
	v_lshl_or_b32 v6, v6, 9, 0x7c00
	s_or_b32 vcc_lo, s0, vcc_lo
	s_wait_alu 0xfffe
	v_add_co_ci_u32_e32 v10, vcc_lo, 0, v10, vcc_lo
	s_or_b32 vcc_lo, s2, s1
	s_wait_alu 0xfffe
	v_add_co_ci_u32_e32 v8, vcc_lo, 0, v8, vcc_lo
	v_cmp_gt_i32_e32 vcc_lo, 31, v9
	s_wait_alu 0xfffd
	v_cndmask_b32_e32 v10, 0x7c00, v10, vcc_lo
	v_cmp_gt_i32_e32 vcc_lo, 31, v11
	s_wait_alu 0xfffd
	v_cndmask_b32_e32 v8, 0x7c00, v8, vcc_lo
	v_cmp_eq_u32_e32 vcc_lo, 0x40f, v9
	s_wait_alu 0xfffd
	v_cndmask_b32_e32 v4, v10, v4, vcc_lo
	v_cmp_eq_u32_e32 vcc_lo, 0x40f, v11
	s_delay_alu instid0(VALU_DEP_2)
	v_and_or_b32 v4, 0x8000, v5, v4
	s_wait_alu 0xfffd
	v_cndmask_b32_e32 v6, v8, v6, vcc_lo
	v_add_co_u32 v2, vcc_lo, v2, s6
	s_wait_alu 0xfffd
	v_add_co_ci_u32_e32 v3, vcc_lo, s7, v3, vcc_lo
	s_delay_alu instid0(VALU_DEP_3) | instskip(SKIP_1) | instid1(VALU_DEP_1)
	v_and_or_b32 v5, 0x8000, v7, v6
	v_and_b32_e32 v4, 0xffff, v4
	v_lshl_or_b32 v4, v5, 16, v4
	global_store_b32 v[2:3], v4, off
	global_load_b32 v6, v37, s[12:13] offset:4576
	v_add_nc_u32_e32 v4, 0x1000, v37
	ds_load_2addr_b32 v[4:5], v4 offset0:120 offset1:208
	s_wait_dscnt 0x0
	v_lshrrev_b32_e32 v7, 16, v4
	s_wait_loadcnt 0x0
	v_lshrrev_b32_e32 v8, 16, v6
	s_delay_alu instid0(VALU_DEP_1) | instskip(SKIP_1) | instid1(VALU_DEP_2)
	v_mul_f16_e32 v9, v7, v8
	v_mul_f16_e32 v8, v4, v8
	v_fmac_f16_e32 v9, v4, v6
	s_delay_alu instid0(VALU_DEP_2) | instskip(NEXT) | instid1(VALU_DEP_2)
	v_fma_f16 v4, v6, v7, -v8
	v_cvt_f32_f16_e32 v6, v9
	s_delay_alu instid0(VALU_DEP_2) | instskip(NEXT) | instid1(VALU_DEP_2)
	v_cvt_f32_f16_e32 v4, v4
	v_cvt_f64_f32_e32 v[6:7], v6
	s_delay_alu instid0(VALU_DEP_2) | instskip(NEXT) | instid1(VALU_DEP_2)
	v_cvt_f64_f32_e32 v[8:9], v4
	v_mul_f64_e32 v[6:7], s[8:9], v[6:7]
	s_delay_alu instid0(VALU_DEP_2) | instskip(NEXT) | instid1(VALU_DEP_2)
	v_mul_f64_e32 v[8:9], s[8:9], v[8:9]
	v_and_or_b32 v4, 0x1ff, v7, v6
	s_delay_alu instid0(VALU_DEP_2)
	v_and_or_b32 v8, 0x1ff, v9, v8
	v_lshrrev_b32_e32 v6, 8, v7
	v_bfe_u32 v10, v7, 20, 11
	v_lshrrev_b32_e32 v11, 8, v9
	v_cmp_ne_u32_e32 vcc_lo, 0, v4
	v_bfe_u32 v12, v9, 20, 11
	v_lshrrev_b32_e32 v7, 16, v7
	v_sub_nc_u32_e32 v13, 0x3f1, v10
	v_add_nc_u32_e32 v10, 0xfffffc10, v10
	s_wait_alu 0xfffd
	v_cndmask_b32_e64 v4, 0, 1, vcc_lo
	v_cmp_ne_u32_e32 vcc_lo, 0, v8
	v_lshrrev_b32_e32 v9, 16, v9
	s_delay_alu instid0(VALU_DEP_3) | instskip(SKIP_4) | instid1(VALU_DEP_3)
	v_and_or_b32 v4, 0xffe, v6, v4
	s_wait_alu 0xfffd
	v_cndmask_b32_e64 v8, 0, 1, vcc_lo
	v_sub_nc_u32_e32 v6, 0x3f1, v12
	v_add_nc_u32_e32 v12, 0xfffffc10, v12
	v_and_or_b32 v8, 0xffe, v11, v8
	v_med3_i32 v11, v13, 0, 13
	v_or_b32_e32 v13, 0x1000, v4
	v_med3_i32 v6, v6, 0, 13
	s_delay_alu instid0(VALU_DEP_4) | instskip(NEXT) | instid1(VALU_DEP_3)
	v_or_b32_e32 v14, 0x1000, v8
	v_lshrrev_b32_e32 v15, v11, v13
	s_delay_alu instid0(VALU_DEP_2) | instskip(NEXT) | instid1(VALU_DEP_2)
	v_lshrrev_b32_e32 v16, v6, v14
	v_lshlrev_b32_e32 v11, v11, v15
	s_delay_alu instid0(VALU_DEP_2) | instskip(NEXT) | instid1(VALU_DEP_2)
	v_lshlrev_b32_e32 v6, v6, v16
	v_cmp_ne_u32_e32 vcc_lo, v11, v13
	v_lshl_or_b32 v13, v10, 12, v4
	s_wait_alu 0xfffd
	v_cndmask_b32_e64 v11, 0, 1, vcc_lo
	v_cmp_ne_u32_e32 vcc_lo, v6, v14
	v_lshl_or_b32 v14, v12, 12, v8
	s_delay_alu instid0(VALU_DEP_3) | instskip(SKIP_3) | instid1(VALU_DEP_2)
	v_or_b32_e32 v11, v15, v11
	s_wait_alu 0xfffd
	v_cndmask_b32_e64 v6, 0, 1, vcc_lo
	v_cmp_gt_i32_e32 vcc_lo, 1, v10
	v_or_b32_e32 v6, v16, v6
	s_wait_alu 0xfffd
	v_cndmask_b32_e32 v11, v13, v11, vcc_lo
	v_cmp_gt_i32_e32 vcc_lo, 1, v12
	s_wait_alu 0xfffd
	s_delay_alu instid0(VALU_DEP_2) | instskip(SKIP_2) | instid1(VALU_DEP_3)
	v_dual_cndmask_b32 v6, v14, v6 :: v_dual_and_b32 v13, 7, v11
	v_cmp_ne_u32_e32 vcc_lo, 0, v4
	v_lshrrev_b32_e32 v11, 2, v11
	v_cmp_eq_u32_e64 s0, 3, v13
	s_delay_alu instid0(VALU_DEP_4)
	v_and_b32_e32 v14, 7, v6
	s_wait_alu 0xfffd
	v_cndmask_b32_e64 v4, 0, 1, vcc_lo
	v_cmp_ne_u32_e32 vcc_lo, 0, v8
	v_lshrrev_b32_e32 v6, 2, v6
	v_cmp_lt_i32_e64 s1, 5, v14
	v_cmp_eq_u32_e64 s2, 3, v14
	s_wait_alu 0xfffd
	v_cndmask_b32_e64 v8, 0, 1, vcc_lo
	v_cmp_lt_i32_e32 vcc_lo, 5, v13
	v_lshl_or_b32 v4, v4, 9, 0x7c00
	s_delay_alu instid0(VALU_DEP_3)
	v_lshl_or_b32 v8, v8, 9, 0x7c00
	s_or_b32 vcc_lo, s0, vcc_lo
	s_wait_alu 0xfffe
	v_add_co_ci_u32_e32 v11, vcc_lo, 0, v11, vcc_lo
	s_or_b32 vcc_lo, s2, s1
	s_wait_alu 0xfffe
	v_add_co_ci_u32_e32 v6, vcc_lo, 0, v6, vcc_lo
	v_cmp_gt_i32_e32 vcc_lo, 31, v10
	s_wait_alu 0xfffd
	v_cndmask_b32_e32 v11, 0x7c00, v11, vcc_lo
	v_cmp_gt_i32_e32 vcc_lo, 31, v12
	s_wait_alu 0xfffd
	v_cndmask_b32_e32 v6, 0x7c00, v6, vcc_lo
	v_cmp_eq_u32_e32 vcc_lo, 0x40f, v10
	s_wait_alu 0xfffd
	v_cndmask_b32_e32 v4, v11, v4, vcc_lo
	v_cmp_eq_u32_e32 vcc_lo, 0x40f, v12
	s_delay_alu instid0(VALU_DEP_2)
	v_and_or_b32 v4, 0x8000, v7, v4
	s_wait_alu 0xfffd
	v_cndmask_b32_e32 v6, v6, v8, vcc_lo
	v_add_co_u32 v2, vcc_lo, v2, s6
	s_wait_alu 0xfffd
	v_add_co_ci_u32_e32 v3, vcc_lo, s7, v3, vcc_lo
	s_delay_alu instid0(VALU_DEP_3) | instskip(SKIP_1) | instid1(VALU_DEP_1)
	v_and_or_b32 v6, 0x8000, v9, v6
	v_and_b32_e32 v4, 0xffff, v4
	v_lshl_or_b32 v4, v6, 16, v4
	v_lshrrev_b32_e32 v6, 16, v5
	global_store_b32 v[2:3], v4, off
	global_load_b32 v4, v37, s[12:13] offset:4928
	s_wait_loadcnt 0x0
	v_lshrrev_b32_e32 v7, 16, v4
	s_delay_alu instid0(VALU_DEP_1) | instskip(SKIP_1) | instid1(VALU_DEP_2)
	v_mul_f16_e32 v8, v6, v7
	v_mul_f16_e32 v7, v5, v7
	v_fmac_f16_e32 v8, v5, v4
	s_delay_alu instid0(VALU_DEP_2) | instskip(NEXT) | instid1(VALU_DEP_2)
	v_fma_f16 v4, v4, v6, -v7
	v_cvt_f32_f16_e32 v5, v8
	s_delay_alu instid0(VALU_DEP_2) | instskip(NEXT) | instid1(VALU_DEP_2)
	v_cvt_f32_f16_e32 v6, v4
	v_cvt_f64_f32_e32 v[4:5], v5
	s_delay_alu instid0(VALU_DEP_2) | instskip(NEXT) | instid1(VALU_DEP_2)
	v_cvt_f64_f32_e32 v[6:7], v6
	v_mul_f64_e32 v[4:5], s[8:9], v[4:5]
	s_delay_alu instid0(VALU_DEP_2) | instskip(NEXT) | instid1(VALU_DEP_2)
	v_mul_f64_e32 v[6:7], s[8:9], v[6:7]
	v_and_or_b32 v4, 0x1ff, v5, v4
	s_delay_alu instid0(VALU_DEP_2)
	v_and_or_b32 v6, 0x1ff, v7, v6
	v_lshrrev_b32_e32 v8, 8, v5
	v_bfe_u32 v9, v5, 20, 11
	v_lshrrev_b32_e32 v10, 8, v7
	v_cmp_ne_u32_e32 vcc_lo, 0, v4
	v_bfe_u32 v11, v7, 20, 11
	v_lshrrev_b32_e32 v5, 16, v5
	v_sub_nc_u32_e32 v12, 0x3f1, v9
	v_add_nc_u32_e32 v9, 0xfffffc10, v9
	s_wait_alu 0xfffd
	v_cndmask_b32_e64 v4, 0, 1, vcc_lo
	v_cmp_ne_u32_e32 vcc_lo, 0, v6
	v_lshrrev_b32_e32 v7, 16, v7
	s_delay_alu instid0(VALU_DEP_3) | instskip(SKIP_4) | instid1(VALU_DEP_3)
	v_and_or_b32 v4, 0xffe, v8, v4
	s_wait_alu 0xfffd
	v_cndmask_b32_e64 v6, 0, 1, vcc_lo
	v_sub_nc_u32_e32 v8, 0x3f1, v11
	v_add_nc_u32_e32 v11, 0xfffffc10, v11
	v_and_or_b32 v6, 0xffe, v10, v6
	v_med3_i32 v10, v12, 0, 13
	v_or_b32_e32 v12, 0x1000, v4
	v_med3_i32 v8, v8, 0, 13
	s_delay_alu instid0(VALU_DEP_4) | instskip(NEXT) | instid1(VALU_DEP_3)
	v_or_b32_e32 v13, 0x1000, v6
	v_lshrrev_b32_e32 v14, v10, v12
	s_delay_alu instid0(VALU_DEP_2) | instskip(NEXT) | instid1(VALU_DEP_2)
	v_lshrrev_b32_e32 v15, v8, v13
	v_lshlrev_b32_e32 v10, v10, v14
	s_delay_alu instid0(VALU_DEP_2) | instskip(NEXT) | instid1(VALU_DEP_2)
	v_lshlrev_b32_e32 v8, v8, v15
	v_cmp_ne_u32_e32 vcc_lo, v10, v12
	v_lshl_or_b32 v12, v9, 12, v4
	s_wait_alu 0xfffd
	v_cndmask_b32_e64 v10, 0, 1, vcc_lo
	v_cmp_ne_u32_e32 vcc_lo, v8, v13
	v_lshl_or_b32 v13, v11, 12, v6
	s_delay_alu instid0(VALU_DEP_3) | instskip(SKIP_3) | instid1(VALU_DEP_2)
	v_or_b32_e32 v10, v14, v10
	s_wait_alu 0xfffd
	v_cndmask_b32_e64 v8, 0, 1, vcc_lo
	v_cmp_gt_i32_e32 vcc_lo, 1, v9
	v_or_b32_e32 v8, v15, v8
	s_wait_alu 0xfffd
	v_cndmask_b32_e32 v10, v12, v10, vcc_lo
	v_cmp_gt_i32_e32 vcc_lo, 1, v11
	s_delay_alu instid0(VALU_DEP_2)
	v_and_b32_e32 v12, 7, v10
	s_wait_alu 0xfffd
	v_cndmask_b32_e32 v8, v13, v8, vcc_lo
	v_cmp_ne_u32_e32 vcc_lo, 0, v4
	v_lshrrev_b32_e32 v10, 2, v10
	v_cmp_eq_u32_e64 s0, 3, v12
	s_delay_alu instid0(VALU_DEP_4)
	v_and_b32_e32 v13, 7, v8
	s_wait_alu 0xfffd
	v_cndmask_b32_e64 v4, 0, 1, vcc_lo
	v_cmp_ne_u32_e32 vcc_lo, 0, v6
	v_lshrrev_b32_e32 v8, 2, v8
	v_cmp_lt_i32_e64 s1, 5, v13
	v_cmp_eq_u32_e64 s2, 3, v13
	s_wait_alu 0xfffd
	v_cndmask_b32_e64 v6, 0, 1, vcc_lo
	v_cmp_lt_i32_e32 vcc_lo, 5, v12
	v_lshl_or_b32 v4, v4, 9, 0x7c00
	s_delay_alu instid0(VALU_DEP_3)
	v_lshl_or_b32 v6, v6, 9, 0x7c00
	s_or_b32 vcc_lo, s0, vcc_lo
	s_wait_alu 0xfffe
	v_add_co_ci_u32_e32 v10, vcc_lo, 0, v10, vcc_lo
	s_or_b32 vcc_lo, s2, s1
	s_wait_alu 0xfffe
	v_add_co_ci_u32_e32 v8, vcc_lo, 0, v8, vcc_lo
	v_cmp_gt_i32_e32 vcc_lo, 31, v9
	s_wait_alu 0xfffd
	v_cndmask_b32_e32 v10, 0x7c00, v10, vcc_lo
	v_cmp_gt_i32_e32 vcc_lo, 31, v11
	s_wait_alu 0xfffd
	v_cndmask_b32_e32 v8, 0x7c00, v8, vcc_lo
	v_cmp_eq_u32_e32 vcc_lo, 0x40f, v9
	s_wait_alu 0xfffd
	v_cndmask_b32_e32 v4, v10, v4, vcc_lo
	v_cmp_eq_u32_e32 vcc_lo, 0x40f, v11
	s_delay_alu instid0(VALU_DEP_2)
	v_and_or_b32 v4, 0x8000, v5, v4
	s_wait_alu 0xfffd
	v_cndmask_b32_e32 v6, v8, v6, vcc_lo
	v_add_co_u32 v2, vcc_lo, v2, s6
	s_wait_alu 0xfffd
	v_add_co_ci_u32_e32 v3, vcc_lo, s7, v3, vcc_lo
	s_delay_alu instid0(VALU_DEP_3) | instskip(SKIP_1) | instid1(VALU_DEP_1)
	v_and_or_b32 v5, 0x8000, v7, v6
	v_and_b32_e32 v4, 0xffff, v4
	v_lshl_or_b32 v4, v5, 16, v4
	global_store_b32 v[2:3], v4, off
	global_load_b32 v6, v37, s[12:13] offset:5280
	v_add_nc_u32_e32 v4, 0x1400, v37
	ds_load_2addr_b32 v[4:5], v4 offset0:40 offset1:128
	s_wait_dscnt 0x0
	v_lshrrev_b32_e32 v7, 16, v4
	s_wait_loadcnt 0x0
	v_lshrrev_b32_e32 v8, 16, v6
	s_delay_alu instid0(VALU_DEP_1) | instskip(SKIP_1) | instid1(VALU_DEP_2)
	v_mul_f16_e32 v9, v7, v8
	v_mul_f16_e32 v8, v4, v8
	v_fmac_f16_e32 v9, v4, v6
	s_delay_alu instid0(VALU_DEP_2) | instskip(NEXT) | instid1(VALU_DEP_2)
	v_fma_f16 v4, v6, v7, -v8
	v_cvt_f32_f16_e32 v6, v9
	s_delay_alu instid0(VALU_DEP_2) | instskip(NEXT) | instid1(VALU_DEP_2)
	v_cvt_f32_f16_e32 v4, v4
	v_cvt_f64_f32_e32 v[6:7], v6
	s_delay_alu instid0(VALU_DEP_2) | instskip(NEXT) | instid1(VALU_DEP_2)
	v_cvt_f64_f32_e32 v[8:9], v4
	v_mul_f64_e32 v[6:7], s[8:9], v[6:7]
	s_delay_alu instid0(VALU_DEP_2) | instskip(NEXT) | instid1(VALU_DEP_2)
	v_mul_f64_e32 v[8:9], s[8:9], v[8:9]
	v_and_or_b32 v4, 0x1ff, v7, v6
	s_delay_alu instid0(VALU_DEP_2)
	v_and_or_b32 v8, 0x1ff, v9, v8
	v_lshrrev_b32_e32 v6, 8, v7
	v_bfe_u32 v10, v7, 20, 11
	v_lshrrev_b32_e32 v11, 8, v9
	v_cmp_ne_u32_e32 vcc_lo, 0, v4
	v_bfe_u32 v12, v9, 20, 11
	v_lshrrev_b32_e32 v7, 16, v7
	v_sub_nc_u32_e32 v13, 0x3f1, v10
	v_add_nc_u32_e32 v10, 0xfffffc10, v10
	s_wait_alu 0xfffd
	v_cndmask_b32_e64 v4, 0, 1, vcc_lo
	v_cmp_ne_u32_e32 vcc_lo, 0, v8
	v_lshrrev_b32_e32 v9, 16, v9
	s_delay_alu instid0(VALU_DEP_3) | instskip(SKIP_4) | instid1(VALU_DEP_3)
	v_and_or_b32 v4, 0xffe, v6, v4
	s_wait_alu 0xfffd
	v_cndmask_b32_e64 v8, 0, 1, vcc_lo
	v_sub_nc_u32_e32 v6, 0x3f1, v12
	v_add_nc_u32_e32 v12, 0xfffffc10, v12
	v_and_or_b32 v8, 0xffe, v11, v8
	v_med3_i32 v11, v13, 0, 13
	v_or_b32_e32 v13, 0x1000, v4
	v_med3_i32 v6, v6, 0, 13
	s_delay_alu instid0(VALU_DEP_4) | instskip(NEXT) | instid1(VALU_DEP_3)
	v_or_b32_e32 v14, 0x1000, v8
	v_lshrrev_b32_e32 v15, v11, v13
	s_delay_alu instid0(VALU_DEP_2) | instskip(NEXT) | instid1(VALU_DEP_2)
	v_lshrrev_b32_e32 v16, v6, v14
	v_lshlrev_b32_e32 v11, v11, v15
	s_delay_alu instid0(VALU_DEP_2) | instskip(NEXT) | instid1(VALU_DEP_2)
	v_lshlrev_b32_e32 v6, v6, v16
	v_cmp_ne_u32_e32 vcc_lo, v11, v13
	v_lshl_or_b32 v13, v10, 12, v4
	s_wait_alu 0xfffd
	v_cndmask_b32_e64 v11, 0, 1, vcc_lo
	v_cmp_ne_u32_e32 vcc_lo, v6, v14
	v_lshl_or_b32 v14, v12, 12, v8
	s_delay_alu instid0(VALU_DEP_3) | instskip(SKIP_3) | instid1(VALU_DEP_2)
	v_or_b32_e32 v11, v15, v11
	s_wait_alu 0xfffd
	v_cndmask_b32_e64 v6, 0, 1, vcc_lo
	v_cmp_gt_i32_e32 vcc_lo, 1, v10
	v_or_b32_e32 v6, v16, v6
	s_wait_alu 0xfffd
	v_cndmask_b32_e32 v11, v13, v11, vcc_lo
	v_cmp_gt_i32_e32 vcc_lo, 1, v12
	s_wait_alu 0xfffd
	s_delay_alu instid0(VALU_DEP_2) | instskip(SKIP_2) | instid1(VALU_DEP_3)
	v_dual_cndmask_b32 v6, v14, v6 :: v_dual_and_b32 v13, 7, v11
	v_cmp_ne_u32_e32 vcc_lo, 0, v4
	v_lshrrev_b32_e32 v11, 2, v11
	v_cmp_eq_u32_e64 s0, 3, v13
	s_delay_alu instid0(VALU_DEP_4)
	v_and_b32_e32 v14, 7, v6
	s_wait_alu 0xfffd
	v_cndmask_b32_e64 v4, 0, 1, vcc_lo
	v_cmp_ne_u32_e32 vcc_lo, 0, v8
	v_lshrrev_b32_e32 v6, 2, v6
	v_cmp_lt_i32_e64 s1, 5, v14
	v_cmp_eq_u32_e64 s2, 3, v14
	s_wait_alu 0xfffd
	v_cndmask_b32_e64 v8, 0, 1, vcc_lo
	v_cmp_lt_i32_e32 vcc_lo, 5, v13
	v_lshl_or_b32 v4, v4, 9, 0x7c00
	s_delay_alu instid0(VALU_DEP_3)
	v_lshl_or_b32 v8, v8, 9, 0x7c00
	s_or_b32 vcc_lo, s0, vcc_lo
	s_wait_alu 0xfffe
	v_add_co_ci_u32_e32 v11, vcc_lo, 0, v11, vcc_lo
	s_or_b32 vcc_lo, s2, s1
	s_wait_alu 0xfffe
	v_add_co_ci_u32_e32 v6, vcc_lo, 0, v6, vcc_lo
	v_cmp_gt_i32_e32 vcc_lo, 31, v10
	s_wait_alu 0xfffd
	v_cndmask_b32_e32 v11, 0x7c00, v11, vcc_lo
	v_cmp_gt_i32_e32 vcc_lo, 31, v12
	s_wait_alu 0xfffd
	v_cndmask_b32_e32 v6, 0x7c00, v6, vcc_lo
	v_cmp_eq_u32_e32 vcc_lo, 0x40f, v10
	s_wait_alu 0xfffd
	v_cndmask_b32_e32 v4, v11, v4, vcc_lo
	v_cmp_eq_u32_e32 vcc_lo, 0x40f, v12
	s_delay_alu instid0(VALU_DEP_2)
	v_and_or_b32 v4, 0x8000, v7, v4
	s_wait_alu 0xfffd
	v_cndmask_b32_e32 v6, v6, v8, vcc_lo
	v_add_co_u32 v2, vcc_lo, v2, s6
	s_wait_alu 0xfffd
	v_add_co_ci_u32_e32 v3, vcc_lo, s7, v3, vcc_lo
	s_delay_alu instid0(VALU_DEP_3) | instskip(SKIP_1) | instid1(VALU_DEP_1)
	v_and_or_b32 v6, 0x8000, v9, v6
	v_and_b32_e32 v4, 0xffff, v4
	v_lshl_or_b32 v4, v6, 16, v4
	global_store_b32 v[2:3], v4, off
	global_load_b32 v2, v37, s[12:13] offset:5632
	v_lshrrev_b32_e32 v3, 16, v5
	s_wait_loadcnt 0x0
	v_lshrrev_b32_e32 v4, 16, v2
	s_delay_alu instid0(VALU_DEP_1) | instskip(SKIP_1) | instid1(VALU_DEP_2)
	v_mul_f16_e32 v6, v3, v4
	v_mul_f16_e32 v4, v5, v4
	v_fmac_f16_e32 v6, v5, v2
	s_delay_alu instid0(VALU_DEP_2) | instskip(NEXT) | instid1(VALU_DEP_2)
	v_fma_f16 v2, v2, v3, -v4
	v_cvt_f32_f16_e32 v3, v6
	s_delay_alu instid0(VALU_DEP_2) | instskip(NEXT) | instid1(VALU_DEP_2)
	v_cvt_f32_f16_e32 v4, v2
	v_cvt_f64_f32_e32 v[2:3], v3
	s_delay_alu instid0(VALU_DEP_2) | instskip(NEXT) | instid1(VALU_DEP_2)
	v_cvt_f64_f32_e32 v[4:5], v4
	v_mul_f64_e32 v[2:3], s[8:9], v[2:3]
	s_delay_alu instid0(VALU_DEP_2) | instskip(NEXT) | instid1(VALU_DEP_2)
	v_mul_f64_e32 v[4:5], s[8:9], v[4:5]
	v_and_or_b32 v2, 0x1ff, v3, v2
	s_delay_alu instid0(VALU_DEP_2)
	v_and_or_b32 v4, 0x1ff, v5, v4
	v_lshrrev_b32_e32 v6, 8, v3
	v_bfe_u32 v8, v3, 20, 11
	v_bfe_u32 v9, v5, 20, 11
	v_cmp_ne_u32_e32 vcc_lo, 0, v2
	v_lshrrev_b32_e32 v7, 8, v5
	v_lshrrev_b32_e32 v5, 16, v5
	v_sub_nc_u32_e32 v10, 0x3f1, v8
	v_sub_nc_u32_e32 v11, 0x3f1, v9
	s_wait_alu 0xfffd
	v_cndmask_b32_e64 v2, 0, 1, vcc_lo
	v_cmp_ne_u32_e32 vcc_lo, 0, v4
	v_add_nc_u32_e32 v9, 0xfffffc10, v9
	s_delay_alu instid0(VALU_DEP_3)
	v_and_or_b32 v12, 0xffe, v6, v2
	s_wait_alu 0xfffd
	v_cndmask_b32_e64 v4, 0, 1, vcc_lo
	v_med3_i32 v2, v10, 0, 13
	v_med3_i32 v10, v11, 0, 13
	v_or_b32_e32 v11, 0x1000, v12
	s_delay_alu instid0(VALU_DEP_4) | instskip(SKIP_1) | instid1(VALU_DEP_3)
	v_and_or_b32 v4, 0xffe, v7, v4
	v_mad_co_u64_u32 v[6:7], null, s4, v36, 0
	v_lshrrev_b32_e32 v14, v2, v11
	s_delay_alu instid0(VALU_DEP_3) | instskip(NEXT) | instid1(VALU_DEP_2)
	v_or_b32_e32 v13, 0x1000, v4
	v_lshlrev_b32_e32 v16, v2, v14
	s_delay_alu instid0(VALU_DEP_2) | instskip(SKIP_1) | instid1(VALU_DEP_3)
	v_lshrrev_b32_e32 v15, v10, v13
	v_mov_b32_e32 v2, v7
	v_cmp_ne_u32_e32 vcc_lo, v16, v11
	s_delay_alu instid0(VALU_DEP_3) | instskip(SKIP_3) | instid1(VALU_DEP_3)
	v_lshlrev_b32_e32 v7, v10, v15
	v_add_nc_u32_e32 v10, 0xfffffc10, v8
	s_wait_alu 0xfffd
	v_cndmask_b32_e64 v11, 0, 1, vcc_lo
	v_cmp_ne_u32_e32 vcc_lo, v7, v13
	v_mad_co_u64_u32 v[7:8], null, s5, v36, v[2:3]
	v_lshl_or_b32 v2, v10, 12, v12
	s_delay_alu instid0(VALU_DEP_4)
	v_or_b32_e32 v8, v14, v11
	s_wait_alu 0xfffd
	v_cndmask_b32_e64 v13, 0, 1, vcc_lo
	v_cmp_gt_i32_e32 vcc_lo, 1, v10
	v_lshl_or_b32 v11, v9, 12, v4
	v_lshrrev_b32_e32 v3, 16, v3
	s_delay_alu instid0(VALU_DEP_4)
	v_or_b32_e32 v13, v15, v13
	s_wait_alu 0xfffd
	v_cndmask_b32_e32 v2, v2, v8, vcc_lo
	v_cmp_gt_i32_e32 vcc_lo, 1, v9
	s_wait_alu 0xfffd
	v_cndmask_b32_e32 v8, v11, v13, vcc_lo
	v_cmp_ne_u32_e32 vcc_lo, 0, v12
	v_and_b32_e32 v12, 7, v2
	v_lshrrev_b32_e32 v2, 2, v2
	s_delay_alu instid0(VALU_DEP_4)
	v_and_b32_e32 v13, 7, v8
	s_wait_alu 0xfffd
	v_cndmask_b32_e64 v11, 0, 1, vcc_lo
	v_cmp_ne_u32_e32 vcc_lo, 0, v4
	v_cmp_eq_u32_e64 s0, 3, v12
	v_lshrrev_b32_e32 v8, 2, v8
	v_cmp_lt_i32_e64 s1, 5, v13
	v_cmp_eq_u32_e64 s2, 3, v13
	s_wait_alu 0xfffd
	v_cndmask_b32_e64 v4, 0, 1, vcc_lo
	v_cmp_lt_i32_e32 vcc_lo, 5, v12
	v_lshl_or_b32 v11, v11, 9, 0x7c00
	s_delay_alu instid0(VALU_DEP_3)
	v_lshl_or_b32 v4, v4, 9, 0x7c00
	s_or_b32 vcc_lo, s0, vcc_lo
	s_wait_alu 0xfffe
	v_add_co_ci_u32_e32 v2, vcc_lo, 0, v2, vcc_lo
	s_or_b32 vcc_lo, s2, s1
	s_wait_alu 0xfffe
	v_add_co_ci_u32_e32 v8, vcc_lo, 0, v8, vcc_lo
	v_cmp_gt_i32_e32 vcc_lo, 31, v10
	s_wait_alu 0xfffd
	v_cndmask_b32_e32 v2, 0x7c00, v2, vcc_lo
	v_cmp_gt_i32_e32 vcc_lo, 31, v9
	s_wait_alu 0xfffd
	v_cndmask_b32_e32 v8, 0x7c00, v8, vcc_lo
	v_cmp_eq_u32_e32 vcc_lo, 0x40f, v10
	s_wait_alu 0xfffd
	v_cndmask_b32_e32 v2, v2, v11, vcc_lo
	v_cmp_eq_u32_e32 vcc_lo, 0x40f, v9
	s_delay_alu instid0(VALU_DEP_2) | instskip(SKIP_2) | instid1(VALU_DEP_1)
	v_and_or_b32 v2, 0x8000, v3, v2
	s_wait_alu 0xfffd
	v_cndmask_b32_e32 v4, v8, v4, vcc_lo
	v_and_or_b32 v4, 0x8000, v5, v4
	s_delay_alu instid0(VALU_DEP_3) | instskip(SKIP_1) | instid1(VALU_DEP_2)
	v_and_b32_e32 v5, 0xffff, v2
	v_lshlrev_b64_e32 v[2:3], 2, v[6:7]
	v_lshl_or_b32 v4, v4, 16, v5
	s_delay_alu instid0(VALU_DEP_2) | instskip(SKIP_1) | instid1(VALU_DEP_3)
	v_add_co_u32 v0, vcc_lo, v0, v2
	s_wait_alu 0xfffd
	v_add_co_ci_u32_e32 v1, vcc_lo, v1, v3, vcc_lo
	global_store_b32 v[0:1], v4, off
.LBB0_23:
	s_nop 0
	s_sendmsg sendmsg(MSG_DEALLOC_VGPRS)
	s_endpgm
	.section	.rodata,"a",@progbits
	.p2align	6, 0x0
	.amdhsa_kernel bluestein_single_back_len1496_dim1_half_op_CI_CI
		.amdhsa_group_segment_fixed_size 5984
		.amdhsa_private_segment_fixed_size 0
		.amdhsa_kernarg_size 104
		.amdhsa_user_sgpr_count 2
		.amdhsa_user_sgpr_dispatch_ptr 0
		.amdhsa_user_sgpr_queue_ptr 0
		.amdhsa_user_sgpr_kernarg_segment_ptr 1
		.amdhsa_user_sgpr_dispatch_id 0
		.amdhsa_user_sgpr_private_segment_size 0
		.amdhsa_wavefront_size32 1
		.amdhsa_uses_dynamic_stack 0
		.amdhsa_enable_private_segment 0
		.amdhsa_system_sgpr_workgroup_id_x 1
		.amdhsa_system_sgpr_workgroup_id_y 0
		.amdhsa_system_sgpr_workgroup_id_z 0
		.amdhsa_system_sgpr_workgroup_info 0
		.amdhsa_system_vgpr_workitem_id 0
		.amdhsa_next_free_vgpr 207
		.amdhsa_next_free_sgpr 16
		.amdhsa_reserve_vcc 1
		.amdhsa_float_round_mode_32 0
		.amdhsa_float_round_mode_16_64 0
		.amdhsa_float_denorm_mode_32 3
		.amdhsa_float_denorm_mode_16_64 3
		.amdhsa_fp16_overflow 0
		.amdhsa_workgroup_processor_mode 1
		.amdhsa_memory_ordered 1
		.amdhsa_forward_progress 0
		.amdhsa_round_robin_scheduling 0
		.amdhsa_exception_fp_ieee_invalid_op 0
		.amdhsa_exception_fp_denorm_src 0
		.amdhsa_exception_fp_ieee_div_zero 0
		.amdhsa_exception_fp_ieee_overflow 0
		.amdhsa_exception_fp_ieee_underflow 0
		.amdhsa_exception_fp_ieee_inexact 0
		.amdhsa_exception_int_div_zero 0
	.end_amdhsa_kernel
	.text
.Lfunc_end0:
	.size	bluestein_single_back_len1496_dim1_half_op_CI_CI, .Lfunc_end0-bluestein_single_back_len1496_dim1_half_op_CI_CI
                                        ; -- End function
	.section	.AMDGPU.csdata,"",@progbits
; Kernel info:
; codeLenInByte = 35472
; NumSgprs: 18
; NumVgprs: 207
; ScratchSize: 0
; MemoryBound: 0
; FloatMode: 240
; IeeeMode: 1
; LDSByteSize: 5984 bytes/workgroup (compile time only)
; SGPRBlocks: 2
; VGPRBlocks: 25
; NumSGPRsForWavesPerEU: 18
; NumVGPRsForWavesPerEU: 207
; Occupancy: 7
; WaveLimiterHint : 1
; COMPUTE_PGM_RSRC2:SCRATCH_EN: 0
; COMPUTE_PGM_RSRC2:USER_SGPR: 2
; COMPUTE_PGM_RSRC2:TRAP_HANDLER: 0
; COMPUTE_PGM_RSRC2:TGID_X_EN: 1
; COMPUTE_PGM_RSRC2:TGID_Y_EN: 0
; COMPUTE_PGM_RSRC2:TGID_Z_EN: 0
; COMPUTE_PGM_RSRC2:TIDIG_COMP_CNT: 0
	.text
	.p2alignl 7, 3214868480
	.fill 96, 4, 3214868480
	.type	__hip_cuid_b4635142dfb1eb69,@object ; @__hip_cuid_b4635142dfb1eb69
	.section	.bss,"aw",@nobits
	.globl	__hip_cuid_b4635142dfb1eb69
__hip_cuid_b4635142dfb1eb69:
	.byte	0                               ; 0x0
	.size	__hip_cuid_b4635142dfb1eb69, 1

	.ident	"AMD clang version 19.0.0git (https://github.com/RadeonOpenCompute/llvm-project roc-6.4.0 25133 c7fe45cf4b819c5991fe208aaa96edf142730f1d)"
	.section	".note.GNU-stack","",@progbits
	.addrsig
	.addrsig_sym __hip_cuid_b4635142dfb1eb69
	.amdgpu_metadata
---
amdhsa.kernels:
  - .args:
      - .actual_access:  read_only
        .address_space:  global
        .offset:         0
        .size:           8
        .value_kind:     global_buffer
      - .actual_access:  read_only
        .address_space:  global
        .offset:         8
        .size:           8
        .value_kind:     global_buffer
      - .actual_access:  read_only
        .address_space:  global
        .offset:         16
        .size:           8
        .value_kind:     global_buffer
      - .actual_access:  read_only
        .address_space:  global
        .offset:         24
        .size:           8
        .value_kind:     global_buffer
      - .actual_access:  read_only
        .address_space:  global
        .offset:         32
        .size:           8
        .value_kind:     global_buffer
      - .offset:         40
        .size:           8
        .value_kind:     by_value
      - .address_space:  global
        .offset:         48
        .size:           8
        .value_kind:     global_buffer
      - .address_space:  global
        .offset:         56
        .size:           8
        .value_kind:     global_buffer
      - .address_space:  global
        .offset:         64
        .size:           8
        .value_kind:     global_buffer
      - .address_space:  global
        .offset:         72
        .size:           8
        .value_kind:     global_buffer
      - .offset:         80
        .size:           4
        .value_kind:     by_value
      - .address_space:  global
        .offset:         88
        .size:           8
        .value_kind:     global_buffer
      - .address_space:  global
        .offset:         96
        .size:           8
        .value_kind:     global_buffer
    .group_segment_fixed_size: 5984
    .kernarg_segment_align: 8
    .kernarg_segment_size: 104
    .language:       OpenCL C
    .language_version:
      - 2
      - 0
    .max_flat_workgroup_size: 187
    .name:           bluestein_single_back_len1496_dim1_half_op_CI_CI
    .private_segment_fixed_size: 0
    .sgpr_count:     18
    .sgpr_spill_count: 0
    .symbol:         bluestein_single_back_len1496_dim1_half_op_CI_CI.kd
    .uniform_work_group_size: 1
    .uses_dynamic_stack: false
    .vgpr_count:     207
    .vgpr_spill_count: 0
    .wavefront_size: 32
    .workgroup_processor_mode: 1
amdhsa.target:   amdgcn-amd-amdhsa--gfx1201
amdhsa.version:
  - 1
  - 2
...

	.end_amdgpu_metadata
